;; amdgpu-corpus repo=ROCm/rocFFT kind=compiled arch=gfx950 opt=O3
	.text
	.amdgcn_target "amdgcn-amd-amdhsa--gfx950"
	.amdhsa_code_object_version 6
	.protected	bluestein_single_fwd_len1690_dim1_dp_op_CI_CI ; -- Begin function bluestein_single_fwd_len1690_dim1_dp_op_CI_CI
	.globl	bluestein_single_fwd_len1690_dim1_dp_op_CI_CI
	.p2align	8
	.type	bluestein_single_fwd_len1690_dim1_dp_op_CI_CI,@function
bluestein_single_fwd_len1690_dim1_dp_op_CI_CI: ; @bluestein_single_fwd_len1690_dim1_dp_op_CI_CI
; %bb.0:
	s_load_dwordx4 s[8:11], s[0:1], 0x28
	v_mul_u32_u24_e32 v1, 0x184, v0
	v_add_u32_sdwa v2, s2, v1 dst_sel:DWORD dst_unused:UNUSED_PAD src0_sel:DWORD src1_sel:WORD_1
	v_mov_b32_e32 v3, 0
	v_accvgpr_write_b32 a0, v2
	s_waitcnt lgkmcnt(0)
	v_cmp_gt_u64_e32 vcc, s[8:9], v[2:3]
	s_and_saveexec_b64 s[2:3], vcc
	s_cbranch_execz .LBB0_23
; %bb.1:
	s_load_dwordx2 s[12:13], s[0:1], 0x0
	s_load_dwordx2 s[8:9], s[0:1], 0x38
	s_movk_i32 s2, 0xa9
	v_mul_lo_u16_sdwa v1, v1, s2 dst_sel:DWORD dst_unused:UNUSED_PAD src0_sel:WORD_1 src1_sel:DWORD
	v_sub_u16_e32 v169, v0, v1
	s_movk_i32 s2, 0x82
	v_cmp_gt_u16_e64 s[2:3], s2, v169
	v_lshlrev_b32_e32 v168, 4, v169
	s_and_saveexec_b64 s[14:15], s[2:3]
	s_cbranch_execz .LBB0_3
; %bb.2:
	s_load_dwordx2 s[4:5], s[0:1], 0x18
	v_accvgpr_read_b32 v10, a0
	v_mov_b32_e32 v0, s10
	v_mov_b32_e32 v1, s11
	;; [unrolled: 1-line block ×3, first 2 shown]
	s_waitcnt lgkmcnt(0)
	s_load_dwordx4 s[4:7], s[4:5], 0x0
	s_waitcnt lgkmcnt(0)
	v_mad_u64_u32 v[2:3], s[10:11], s6, v10, 0
	v_mad_u64_u32 v[4:5], s[10:11], s4, v169, 0
	v_mov_b32_e32 v6, v3
	v_mov_b32_e32 v8, v5
	v_mad_u64_u32 v[6:7], s[6:7], s7, v10, v[6:7]
	v_mov_b32_e32 v3, v6
	v_mad_u64_u32 v[6:7], s[6:7], s5, v169, v[8:9]
	v_mov_b32_e32 v5, v6
	v_lshl_add_u64 v[0:1], v[2:3], 4, v[0:1]
	v_lshl_add_u64 v[8:9], v[4:5], 4, v[0:1]
	v_mad_u64_u32 v[26:27], s[6:7], s4, v106, v[8:9]
	s_mulk_i32 s5, 0x820
	v_add_u32_e32 v27, s5, v27
	v_mov_b32_e32 v4, v169
	v_mov_b32_e32 v169, 0
	v_mad_u64_u32 v[22:23], s[6:7], s4, v106, v[26:27]
	v_lshl_add_u64 v[20:21], s[12:13], 0, v[168:169]
	s_movk_i32 s6, 0x1000
	v_add_co_u32_e32 v24, vcc, s6, v20
	s_movk_i32 s6, 0x2000
	s_nop 0
	v_addc_co_u32_e32 v25, vcc, 0, v21, vcc
	v_add_co_u32_e32 v50, vcc, s6, v20
	s_movk_i32 s7, 0x3000
	s_nop 0
	v_addc_co_u32_e32 v51, vcc, 0, v21, vcc
	v_add_u32_e32 v23, s5, v23
	v_add_co_u32_e32 v52, vcc, s7, v20
	global_load_dwordx4 v[0:3], v[8:9], off
	v_mov_b32_e32 v169, v4
	global_load_dwordx4 v[4:7], v168, s[12:13]
	global_load_dwordx4 v[8:11], v168, s[12:13] offset:2080
	global_load_dwordx4 v[12:15], v[26:27], off
	global_load_dwordx4 v[16:19], v[22:23], off
	v_addc_co_u32_e32 v53, vcc, 0, v21, vcc
	global_load_dwordx4 v[26:29], v[24:25], off offset:64
	global_load_dwordx4 v[30:33], v[24:25], off offset:2144
	;; [unrolled: 1-line block ×6, first 2 shown]
	v_mad_u64_u32 v[50:51], s[6:7], s4, v106, v[22:23]
	v_add_u32_e32 v51, s5, v51
	v_mad_u64_u32 v[54:55], s[6:7], s4, v106, v[50:51]
	v_add_u32_e32 v55, s5, v55
	global_load_dwordx4 v[22:25], v[50:51], off
	v_mad_u64_u32 v[58:59], s[6:7], s4, v106, v[54:55]
	v_add_u32_e32 v59, s5, v59
	global_load_dwordx4 v[50:53], v[54:55], off
	;; [unrolled: 3-line block ×4, first 2 shown]
	v_mad_u64_u32 v[70:71], s[6:7], s4, v106, v[66:67]
	s_movk_i32 s10, 0x4000
	v_add_u32_e32 v71, s5, v71
	v_add_co_u32_e32 v82, vcc, s10, v20
	global_load_dwordx4 v[62:65], v[66:67], off
	v_mad_u64_u32 v[84:85], s[6:7], s4, v106, v[70:71]
	s_movk_i32 s11, 0x6000
	v_addc_co_u32_e32 v83, vcc, 0, v21, vcc
	v_add_u32_e32 v85, s5, v85
	v_add_co_u32_e32 v102, vcc, s11, v20
	global_load_dwordx4 v[66:69], v[70:71], off
	v_mad_u64_u32 v[90:91], s[6:7], s4, v106, v[84:85]
	v_addc_co_u32_e32 v103, vcc, 0, v21, vcc
	global_load_dwordx4 v[70:73], v[84:85], off
	global_load_dwordx4 v[74:77], v[82:83], off offset:256
	global_load_dwordx4 v[78:81], v[82:83], off offset:2336
	s_movk_i32 s6, 0x5000
	v_add_co_u32_e32 v20, vcc, s6, v20
	v_add_u32_e32 v91, s5, v91
	s_nop 0
	v_addc_co_u32_e32 v21, vcc, 0, v21, vcc
	global_load_dwordx4 v[82:85], v[90:91], off
	global_load_dwordx4 v[86:89], v[20:21], off offset:320
	v_mad_u64_u32 v[104:105], s[6:7], s4, v106, v[90:91]
	v_add_u32_e32 v105, s5, v105
	global_load_dwordx4 v[90:93], v[104:105], off
	global_load_dwordx4 v[94:97], v[20:21], off offset:2400
	global_load_dwordx4 v[98:101], v[102:103], off offset:384
	v_mad_u64_u32 v[20:21], s[6:7], s4, v106, v[104:105]
	v_add_u32_e32 v21, s5, v21
	global_load_dwordx4 v[102:105], v[20:21], off
	s_waitcnt vmcnt(24)
	v_mul_f64 v[106:107], v[2:3], v[6:7]
	v_mul_f64 v[6:7], v[0:1], v[6:7]
	v_fmac_f64_e32 v[106:107], v[0:1], v[4:5]
	v_fma_f64 v[108:109], v[2:3], v[4:5], -v[6:7]
	s_waitcnt vmcnt(22)
	v_mul_f64 v[0:1], v[14:15], v[10:11]
	v_mul_f64 v[2:3], v[12:13], v[10:11]
	v_fmac_f64_e32 v[0:1], v[12:13], v[8:9]
	v_fma_f64 v[2:3], v[14:15], v[8:9], -v[2:3]
	s_waitcnt vmcnt(20)
	v_mul_f64 v[4:5], v[18:19], v[28:29]
	v_mul_f64 v[6:7], v[16:17], v[28:29]
	ds_write_b128 v168, v[106:109]
	v_fmac_f64_e32 v[4:5], v[16:17], v[26:27]
	v_fma_f64 v[6:7], v[18:19], v[26:27], -v[6:7]
	ds_write_b128 v168, v[0:3] offset:2080
	ds_write_b128 v168, v[4:7] offset:4160
	s_waitcnt vmcnt(14)
	v_mul_f64 v[0:1], v[24:25], v[32:33]
	v_mul_f64 v[2:3], v[22:23], v[32:33]
	v_fmac_f64_e32 v[0:1], v[22:23], v[30:31]
	v_fma_f64 v[2:3], v[24:25], v[30:31], -v[2:3]
	ds_write_b128 v168, v[0:3] offset:6240
	s_waitcnt vmcnt(13)
	v_mul_f64 v[0:1], v[52:53], v[36:37]
	v_mul_f64 v[2:3], v[50:51], v[36:37]
	v_fmac_f64_e32 v[0:1], v[50:51], v[34:35]
	v_fma_f64 v[2:3], v[52:53], v[34:35], -v[2:3]
	;; [unrolled: 6-line block ×10, first 2 shown]
	ds_write_b128 v168, v[0:3] offset:24960
.LBB0_3:
	s_or_b64 exec, exec, s[14:15]
	s_load_dwordx2 s[4:5], s[0:1], 0x20
	s_load_dwordx2 s[10:11], s[0:1], 0x8
	s_waitcnt lgkmcnt(0)
	s_barrier
	s_waitcnt lgkmcnt(0)
                                        ; implicit-def: $vgpr0_vgpr1
                                        ; implicit-def: $vgpr4_vgpr5
                                        ; implicit-def: $vgpr8_vgpr9
                                        ; implicit-def: $vgpr12_vgpr13
                                        ; implicit-def: $vgpr16_vgpr17
                                        ; implicit-def: $vgpr20_vgpr21
                                        ; implicit-def: $vgpr24_vgpr25
                                        ; implicit-def: $vgpr28_vgpr29
                                        ; implicit-def: $vgpr32_vgpr33
                                        ; implicit-def: $vgpr36_vgpr37
                                        ; implicit-def: $vgpr40_vgpr41
                                        ; implicit-def: $vgpr44_vgpr45
                                        ; implicit-def: $vgpr48_vgpr49
	s_and_saveexec_b64 s[0:1], s[2:3]
	s_cbranch_execz .LBB0_5
; %bb.4:
	ds_read_b128 v[0:3], v168
	ds_read_b128 v[4:7], v168 offset:2080
	ds_read_b128 v[8:11], v168 offset:4160
	;; [unrolled: 1-line block ×12, first 2 shown]
.LBB0_5:
	s_or_b64 exec, exec, s[0:1]
	s_mov_b32 s18, 0x4267c47c
	s_waitcnt lgkmcnt(0)
	v_add_f64 v[100:101], v[6:7], -v[50:51]
	s_mov_b32 s0, 0xe00740e9
	s_mov_b32 s19, 0xbfddbe06
	;; [unrolled: 1-line block ×3, first 2 shown]
	v_add_f64 v[76:77], v[4:5], v[48:49]
	v_add_f64 v[80:81], v[4:5], -v[48:49]
	s_mov_b32 s1, 0x3fec55a7
	v_mul_f64 v[172:173], v[100:101], s[18:19]
	s_mov_b32 s6, 0x1ea71119
	s_mov_b32 s25, 0xbfea55e2
	v_add_f64 v[114:115], v[10:11], -v[46:47]
	v_add_f64 v[104:105], v[6:7], v[50:51]
	v_mul_f64 v[70:71], v[80:81], s[18:19]
	v_fma_f64 v[52:53], s[0:1], v[76:77], v[172:173]
	s_mov_b32 s7, 0x3fe22d96
	s_mov_b32 s16, 0x66966769
	v_add_f64 v[98:99], v[8:9], v[44:45]
	v_add_f64 v[106:107], v[8:9], -v[44:45]
	v_mul_f64 v[72:73], v[114:115], s[24:25]
	v_add_f64 v[52:53], v[0:1], v[52:53]
	v_fma_f64 v[54:55], v[104:105], s[0:1], -v[70:71]
	s_mov_b32 s14, 0xebaa3ed8
	s_mov_b32 s17, 0xbfefc445
	v_add_f64 v[122:123], v[10:11], v[46:47]
	v_mul_f64 v[74:75], v[106:107], s[24:25]
	v_fma_f64 v[56:57], s[6:7], v[98:99], v[72:73]
	v_add_f64 v[130:131], v[14:15], -v[42:43]
	v_add_f64 v[54:55], v[2:3], v[54:55]
	s_mov_b32 s15, 0x3fbedb7d
	v_add_f64 v[52:53], v[56:57], v[52:53]
	v_fma_f64 v[56:57], v[122:123], s[6:7], -v[74:75]
	v_add_f64 v[110:111], v[12:13], v[40:41]
	v_mul_f64 v[78:79], v[130:131], s[16:17]
	v_add_f64 v[120:121], v[12:13], -v[40:41]
	s_mov_b32 s26, 0x2ef20147
	v_add_f64 v[54:55], v[56:57], v[54:55]
	v_add_f64 v[146:147], v[14:15], v[42:43]
	v_fma_f64 v[56:57], s[14:15], v[110:111], v[78:79]
	v_mul_f64 v[82:83], v[120:121], s[16:17]
	s_mov_b32 s22, 0xb2365da1
	s_mov_b32 s27, 0xbfedeba7
	v_add_f64 v[152:153], v[18:19], -v[38:39]
	v_add_f64 v[52:53], v[56:57], v[52:53]
	v_fma_f64 v[56:57], v[146:147], s[14:15], -v[82:83]
	s_mov_b32 s23, 0xbfd6b1d8
	v_add_f64 v[118:119], v[16:17], v[36:37]
	v_mul_f64 v[96:97], v[152:153], s[26:27]
	v_add_f64 v[136:137], v[16:17], -v[36:37]
	s_mov_b32 s30, 0x24c2f84
	v_add_f64 v[54:55], v[56:57], v[54:55]
	v_fma_f64 v[56:57], s[22:23], v[118:119], v[96:97]
	v_add_f64 v[132:133], v[18:19], v[38:39]
	v_mul_f64 v[102:103], v[136:137], s[26:27]
	s_mov_b32 s28, 0xd0032e0c
	s_mov_b32 s31, 0x3fe5384d
	;; [unrolled: 1-line block ×4, first 2 shown]
	v_add_f64 v[184:185], v[22:23], -v[34:35]
	v_add_f64 v[52:53], v[56:57], v[52:53]
	v_fma_f64 v[56:57], v[132:133], s[22:23], -v[102:103]
	s_mov_b32 s29, 0xbfe7f3cc
	v_add_f64 v[144:145], v[20:21], v[32:33]
	v_mul_f64 v[108:109], v[184:185], s[36:37]
	v_add_f64 v[170:171], v[20:21], -v[32:33]
	s_mov_b32 s38, 0x4bc48dbf
	v_add_f64 v[54:55], v[56:57], v[54:55]
	v_fma_f64 v[56:57], s[28:29], v[144:145], v[108:109]
	v_add_f64 v[158:159], v[22:23], v[34:35]
	v_mul_f64 v[112:113], v[170:171], s[36:37]
	s_mov_b32 s34, 0x93053d00
	s_mov_b32 s39, 0xbfcea1e5
	v_add_f64 v[214:215], v[26:27], -v[30:31]
	v_add_f64 v[52:53], v[56:57], v[52:53]
	v_fma_f64 v[56:57], v[158:159], s[28:29], -v[112:113]
	s_mov_b32 s35, 0xbfef11f4
	v_add_f64 v[162:163], v[24:25], v[28:29]
	v_mul_f64 v[116:117], v[214:215], s[38:39]
	v_add_f64 v[198:199], v[24:25], -v[28:29]
	v_add_f64 v[54:55], v[56:57], v[54:55]
	v_fma_f64 v[56:57], s[34:35], v[162:163], v[116:117]
	v_add_f64 v[164:165], v[26:27], v[30:31]
	v_mul_f64 v[124:125], v[198:199], s[38:39]
	v_add_f64 v[84:85], v[56:57], v[52:53]
	v_fma_f64 v[52:53], v[164:165], s[34:35], -v[124:125]
	v_mul_f64 v[126:127], v[100:101], s[24:25]
	v_add_f64 v[86:87], v[52:53], v[54:55]
	v_fma_f64 v[52:53], s[6:7], v[76:77], v[126:127]
	v_mul_f64 v[128:129], v[114:115], s[26:27]
	v_add_f64 v[52:53], v[0:1], v[52:53]
	v_fma_f64 v[54:55], s[22:23], v[98:99], v[128:129]
	v_mul_f64 v[138:139], v[80:81], s[24:25]
	v_add_f64 v[52:53], v[54:55], v[52:53]
	v_fma_f64 v[54:55], v[104:105], s[6:7], -v[138:139]
	v_mul_f64 v[142:143], v[106:107], s[26:27]
	v_add_f64 v[54:55], v[2:3], v[54:55]
	v_fma_f64 v[56:57], v[122:123], s[22:23], -v[142:143]
	v_mul_f64 v[134:135], v[130:131], s[38:39]
	v_add_f64 v[54:55], v[56:57], v[54:55]
	v_fma_f64 v[56:57], s[34:35], v[110:111], v[134:135]
	v_mul_f64 v[150:151], v[120:121], s[38:39]
	v_add_f64 v[52:53], v[56:57], v[52:53]
	v_fma_f64 v[56:57], v[146:147], s[34:35], -v[150:151]
	v_mul_f64 v[140:141], v[152:153], s[30:31]
	v_add_f64 v[54:55], v[56:57], v[54:55]
	v_fma_f64 v[56:57], s[28:29], v[118:119], v[140:141]
	v_mul_f64 v[154:155], v[136:137], s[30:31]
	s_mov_b32 s43, 0x3fefc445
	s_mov_b32 s42, s16
	v_add_f64 v[52:53], v[56:57], v[52:53]
	v_fma_f64 v[56:57], v[132:133], s[28:29], -v[154:155]
	v_mul_f64 v[148:149], v[184:185], s[42:43]
	v_add_f64 v[54:55], v[56:57], v[54:55]
	v_fma_f64 v[56:57], s[14:15], v[144:145], v[148:149]
	v_mul_f64 v[160:161], v[170:171], s[42:43]
	s_mov_b32 s41, 0x3fddbe06
	s_mov_b32 s40, s18
	v_add_f64 v[52:53], v[56:57], v[52:53]
	v_fma_f64 v[56:57], v[158:159], s[14:15], -v[160:161]
	v_mul_f64 v[156:157], v[214:215], s[40:41]
	v_add_f64 v[54:55], v[56:57], v[54:55]
	v_fma_f64 v[56:57], s[0:1], v[162:163], v[156:157]
	v_mul_f64 v[166:167], v[198:199], s[40:41]
	v_add_f64 v[88:89], v[56:57], v[52:53]
	v_fma_f64 v[52:53], v[164:165], s[0:1], -v[166:167]
	v_mul_f64 v[174:175], v[100:101], s[16:17]
	v_add_f64 v[90:91], v[52:53], v[54:55]
	v_fma_f64 v[52:53], s[14:15], v[76:77], v[174:175]
	v_mul_f64 v[178:179], v[114:115], s[38:39]
	v_add_f64 v[52:53], v[0:1], v[52:53]
	v_fma_f64 v[54:55], s[34:35], v[98:99], v[178:179]
	v_mul_f64 v[190:191], v[80:81], s[16:17]
	v_add_f64 v[52:53], v[54:55], v[52:53]
	v_fma_f64 v[54:55], v[104:105], s[14:15], -v[190:191]
	v_mul_f64 v[196:197], v[106:107], s[38:39]
	s_mov_b32 s45, 0x3fedeba7
	s_mov_b32 s44, s26
	v_add_f64 v[54:55], v[2:3], v[54:55]
	v_fma_f64 v[56:57], v[122:123], s[34:35], -v[196:197]
	v_mul_f64 v[188:189], v[130:131], s[44:45]
	v_add_f64 v[54:55], v[56:57], v[54:55]
	v_fma_f64 v[56:57], s[22:23], v[110:111], v[188:189]
	v_mul_f64 v[204:205], v[120:121], s[44:45]
	v_add_f64 v[52:53], v[56:57], v[52:53]
	v_fma_f64 v[56:57], v[146:147], s[22:23], -v[204:205]
	v_mul_f64 v[194:195], v[152:153], s[40:41]
	v_add_f64 v[54:55], v[56:57], v[54:55]
	v_fma_f64 v[56:57], s[0:1], v[118:119], v[194:195]
	v_mul_f64 v[210:211], v[136:137], s[40:41]
	;; [unrolled: 6-line block ×4, first 2 shown]
	v_add_f64 v[92:93], v[56:57], v[52:53]
	v_fma_f64 v[52:53], v[164:165], s[28:29], -v[220:221]
	v_add_f64 v[94:95], v[52:53], v[54:55]
	v_mul_lo_u16_e32 v52, 13, v169
	v_accvgpr_write_b32 a1, v52
	s_barrier
	s_and_saveexec_b64 s[20:21], s[2:3]
	s_cbranch_execz .LBB0_7
; %bb.6:
	v_mul_f64 v[232:233], v[104:105], s[34:35]
	s_mov_b32 s47, 0x3fcea1e5
	s_mov_b32 s46, s38
	v_mul_f64 v[228:229], v[122:123], s[0:1]
	v_fma_f64 v[234:235], s[46:47], v[80:81], v[232:233]
	v_mul_f64 v[246:247], v[100:101], s[38:39]
	v_mul_f64 v[64:65], v[146:147], s[28:29]
	v_fma_f64 v[230:231], s[18:19], v[106:107], v[228:229]
	v_add_f64 v[234:235], v[2:3], v[234:235]
	v_mul_f64 v[242:243], v[114:115], s[40:41]
	v_fma_f64 v[248:249], s[34:35], v[76:77], v[246:247]
	v_mul_f64 v[60:61], v[132:133], s[6:7]
	v_fma_f64 v[66:67], s[30:31], v[120:121], v[64:65]
	v_add_f64 v[230:231], v[230:231], v[234:235]
	s_mov_b32 s49, 0x3fea55e2
	s_mov_b32 s48, s24
	v_mul_f64 v[238:239], v[130:131], s[36:37]
	v_fma_f64 v[244:245], s[0:1], v[98:99], v[242:243]
	v_add_f64 v[248:249], v[0:1], v[248:249]
	v_mul_f64 v[52:53], v[76:77], s[0:1]
	v_mul_f64 v[58:59], v[158:159], s[22:23]
	v_fma_f64 v[62:63], s[24:25], v[136:137], v[60:61]
	v_add_f64 v[66:67], v[66:67], v[230:231]
	v_mul_f64 v[234:235], v[152:153], s[48:49]
	v_fma_f64 v[240:241], s[28:29], v[110:111], v[238:239]
	v_add_f64 v[244:245], v[244:245], v[248:249]
	v_accvgpr_write_b32 a2, v52
	v_mul_f64 v[56:57], v[164:165], s[14:15]
	v_fma_f64 v[54:55], s[44:45], v[170:171], v[58:59]
	v_add_f64 v[62:63], v[62:63], v[66:67]
	v_mul_f64 v[66:67], v[184:185], s[26:27]
	v_fma_f64 v[236:237], s[6:7], v[118:119], v[234:235]
	v_add_f64 v[240:241], v[240:241], v[244:245]
	v_accvgpr_write_b32 a3, v53
	v_fma_f64 v[52:53], s[16:17], v[198:199], v[56:57]
	v_add_f64 v[54:55], v[54:55], v[62:63]
	v_mul_f64 v[62:63], v[214:215], s[42:43]
	v_fma_f64 v[230:231], s[22:23], v[144:145], v[66:67]
	v_add_f64 v[236:237], v[236:237], v[240:241]
	v_add_f64 v[54:55], v[52:53], v[54:55]
	v_fma_f64 v[52:53], s[14:15], v[162:163], v[62:63]
	v_add_f64 v[230:231], v[230:231], v[236:237]
	v_fmac_f64_e32 v[232:233], s[38:39], v[80:81]
	v_add_f64 v[52:53], v[52:53], v[230:231]
	v_fmac_f64_e32 v[228:229], s[40:41], v[106:107]
	;; [unrolled: 2-line block ×5, first 2 shown]
	v_add_f64 v[60:61], v[60:61], v[64:65]
	v_fma_f64 v[228:229], v[76:77], s[34:35], -v[246:247]
	v_mul_f64 v[240:241], v[104:105], s[28:29]
	v_add_f64 v[58:59], v[58:59], v[60:61]
	v_fma_f64 v[60:61], v[144:145], s[22:23], -v[66:67]
	v_fma_f64 v[66:67], v[98:99], s[0:1], -v[242:243]
	v_add_f64 v[228:229], v[0:1], v[228:229]
	v_mul_f64 v[236:237], v[122:123], s[14:15]
	v_fma_f64 v[242:243], s[30:31], v[80:81], v[240:241]
	v_fmac_f64_e32 v[56:57], s[42:43], v[198:199]
	v_fma_f64 v[64:65], v[110:111], s[28:29], -v[238:239]
	v_add_f64 v[66:67], v[66:67], v[228:229]
	v_mul_f64 v[232:233], v[146:147], s[6:7]
	v_fma_f64 v[238:239], s[16:17], v[106:107], v[236:237]
	v_add_f64 v[242:243], v[2:3], v[242:243]
	v_add_f64 v[58:59], v[56:57], v[58:59]
	v_fma_f64 v[56:57], v[162:163], s[14:15], -v[62:63]
	v_fma_f64 v[62:63], v[118:119], s[6:7], -v[234:235]
	v_add_f64 v[64:65], v[64:65], v[66:67]
	v_mul_f64 v[228:229], v[132:133], s[34:35]
	v_fma_f64 v[234:235], s[48:49], v[120:121], v[232:233]
	v_add_f64 v[238:239], v[238:239], v[242:243]
	v_add_f64 v[62:63], v[62:63], v[64:65]
	v_mul_f64 v[66:67], v[158:159], s[0:1]
	v_fma_f64 v[230:231], s[38:39], v[136:137], v[228:229]
	v_add_f64 v[234:235], v[234:235], v[238:239]
	;; [unrolled: 4-line block ×3, first 2 shown]
	v_mul_f64 v[246:247], v[100:101], s[36:37]
	v_fmac_f64_e32 v[240:241], s[36:37], v[80:81]
	v_add_f64 v[56:57], v[56:57], v[60:61]
	v_fma_f64 v[60:61], s[44:45], v[198:199], v[64:65]
	v_add_f64 v[62:63], v[62:63], v[230:231]
	v_mul_f64 v[244:245], v[114:115], s[42:43]
	v_fma_f64 v[248:249], s[28:29], v[76:77], v[246:247]
	v_fmac_f64_e32 v[236:237], s[42:43], v[106:107]
	v_add_f64 v[240:241], v[2:3], v[240:241]
	v_add_f64 v[62:63], v[60:61], v[62:63]
	v_mul_f64 v[242:243], v[130:131], s[24:25]
	v_fma_f64 v[60:61], s[14:15], v[98:99], v[244:245]
	v_add_f64 v[248:249], v[0:1], v[248:249]
	v_add_f64 v[236:237], v[236:237], v[240:241]
	v_fmac_f64_e32 v[232:233], s[24:25], v[120:121]
	v_mul_f64 v[238:239], v[152:153], s[46:47]
	v_add_f64 v[60:61], v[60:61], v[248:249]
	v_fma_f64 v[248:249], s[6:7], v[110:111], v[242:243]
	v_add_f64 v[232:233], v[232:233], v[236:237]
	v_fmac_f64_e32 v[228:229], s[46:47], v[136:137]
	v_mul_f64 v[234:235], v[184:185], s[40:41]
	v_add_f64 v[60:61], v[248:249], v[60:61]
	v_fma_f64 v[248:249], s[34:35], v[118:119], v[238:239]
	v_add_f64 v[228:229], v[228:229], v[232:233]
	v_fmac_f64_e32 v[66:67], s[40:41], v[170:171]
	v_mul_f64 v[182:183], v[104:105], s[0:1]
	v_mul_f64 v[208:209], v[104:105], s[6:7]
	;; [unrolled: 1-line block ×4, first 2 shown]
	v_add_f64 v[60:61], v[248:249], v[60:61]
	v_fma_f64 v[248:249], s[0:1], v[144:145], v[234:235]
	v_fmac_f64_e32 v[64:65], s[26:27], v[198:199]
	v_add_f64 v[66:67], v[66:67], v[228:229]
	v_fma_f64 v[228:229], v[144:145], s[0:1], -v[234:235]
	v_fma_f64 v[234:235], v[110:111], s[6:7], -v[242:243]
	v_fma_f64 v[242:243], v[76:77], s[28:29], -v[246:247]
	v_mul_f64 v[104:105], v[104:105], s[22:23]
	v_mul_f64 v[186:187], v[122:123], s[6:7]
	v_mul_f64 v[212:213], v[122:123], s[22:23]
	v_mul_f64 v[226:227], v[122:123], s[34:35]
	v_add_f64 v[60:61], v[248:249], v[60:61]
	v_fma_f64 v[248:249], s[22:23], v[162:163], v[230:231]
	v_add_f64 v[66:67], v[64:65], v[66:67]
	v_fma_f64 v[64:65], v[162:163], s[22:23], -v[230:231]
	v_fma_f64 v[230:231], v[118:119], s[34:35], -v[238:239]
	;; [unrolled: 1-line block ×3, first 2 shown]
	v_add_f64 v[242:243], v[0:1], v[242:243]
	v_mul_f64 v[122:123], v[122:123], s[28:29]
	v_fma_f64 v[246:247], s[44:45], v[80:81], v[104:105]
	v_add_f64 v[60:61], v[248:249], v[60:61]
	v_mul_f64 v[248:249], v[146:147], s[14:15]
	v_mul_f64 v[240:241], v[146:147], s[34:35]
	;; [unrolled: 1-line block ×3, first 2 shown]
	v_add_f64 v[238:239], v[238:239], v[242:243]
	v_mul_f64 v[146:147], v[146:147], s[0:1]
	v_fma_f64 v[244:245], s[36:37], v[106:107], v[122:123]
	v_add_f64 v[246:247], v[2:3], v[246:247]
	v_add_f64 v[234:235], v[234:235], v[238:239]
	v_mul_f64 v[242:243], v[132:133], s[14:15]
	v_add_f64 v[244:245], v[244:245], v[246:247]
	v_fma_f64 v[246:247], s[18:19], v[120:121], v[146:147]
	v_add_f64 v[230:231], v[230:231], v[234:235]
	v_mul_f64 v[238:239], v[158:159], s[34:35]
	v_add_f64 v[244:245], v[246:247], v[244:245]
	v_fma_f64 v[246:247], s[42:43], v[136:137], v[242:243]
	v_add_f64 v[228:229], v[228:229], v[230:231]
	v_fma_f64 v[230:231], s[38:39], v[170:171], v[238:239]
	v_add_f64 v[244:245], v[246:247], v[244:245]
	v_mul_f64 v[234:235], v[164:165], s[6:7]
	v_add_f64 v[230:231], v[230:231], v[244:245]
	v_mul_f64 v[244:245], v[100:101], s[26:27]
	v_mul_f64 v[192:193], v[76:77], s[6:7]
	;; [unrolled: 1-line block ×3, first 2 shown]
	v_add_f64 v[64:65], v[64:65], v[228:229]
	v_fma_f64 v[228:229], s[24:25], v[198:199], v[234:235]
	v_mul_f64 v[114:115], v[114:115], s[30:31]
	v_fma_f64 v[100:101], s[22:23], v[76:77], v[244:245]
	v_fma_f64 v[76:77], v[76:77], s[22:23], -v[244:245]
	v_mul_f64 v[176:177], v[98:99], s[6:7]
	v_mul_f64 v[200:201], v[98:99], s[22:23]
	;; [unrolled: 1-line block ×3, first 2 shown]
	v_add_f64 v[230:231], v[228:229], v[230:231]
	v_mul_f64 v[130:131], v[130:131], s[40:41]
	v_fma_f64 v[228:229], s[28:29], v[98:99], v[114:115]
	v_add_f64 v[100:101], v[0:1], v[100:101]
	v_fma_f64 v[98:99], v[98:99], s[28:29], -v[114:115]
	v_add_f64 v[76:77], v[0:1], v[76:77]
	v_mul_f64 v[180:181], v[110:111], s[14:15]
	v_mul_f64 v[250:251], v[110:111], s[34:35]
	;; [unrolled: 1-line block ×4, first 2 shown]
	v_add_f64 v[100:101], v[228:229], v[100:101]
	v_fma_f64 v[228:229], s[0:1], v[110:111], v[130:131]
	v_fma_f64 v[110:111], v[110:111], s[0:1], -v[130:131]
	v_add_f64 v[76:77], v[98:99], v[76:77]
	v_add_f64 v[100:101], v[228:229], v[100:101]
	v_fma_f64 v[228:229], s[14:15], v[118:119], v[152:153]
	v_mul_f64 v[246:247], v[118:119], s[22:23]
	v_fmac_f64_e32 v[234:235], s[48:49], v[198:199]
	v_mul_f64 v[198:199], v[118:119], s[28:29]
	v_fmac_f64_e32 v[242:243], s[16:17], v[136:137]
	v_mul_f64 v[136:137], v[118:119], s[0:1]
	v_fma_f64 v[118:119], v[118:119], s[14:15], -v[152:153]
	v_add_f64 v[76:77], v[110:111], v[76:77]
	v_add_f64 v[130:131], v[190:191], v[224:225]
	;; [unrolled: 1-line block ×5, first 2 shown]
	v_mul_f64 v[184:185], v[184:185], s[46:47]
	v_mul_f64 v[252:253], v[132:133], s[22:23]
	v_fmac_f64_e32 v[238:239], s[46:47], v[170:171]
	v_mul_f64 v[170:171], v[132:133], s[28:29]
	v_mul_f64 v[132:133], v[132:133], s[0:1]
	v_add_f64 v[114:115], v[204:205], v[232:233]
	v_add_f64 v[118:119], v[118:119], v[130:131]
	v_add_f64 v[130:131], v[218:219], -v[174:175]
	v_mul_f64 v[214:215], v[214:215], s[48:49]
	v_add_f64 v[100:101], v[228:229], v[100:101]
	v_fma_f64 v[228:229], s[34:35], v[144:145], v[184:185]
	v_fmac_f64_e32 v[122:123], s[30:31], v[106:107]
	v_mul_f64 v[106:107], v[158:159], s[6:7]
	v_add_f64 v[110:111], v[210:211], v[132:133]
	v_add_f64 v[114:115], v[114:115], v[118:119]
	v_add_f64 v[118:119], v[222:223], -v[178:179]
	v_add_f64 v[130:131], v[0:1], v[130:131]
	v_add_f64 v[100:101], v[228:229], v[100:101]
	v_fma_f64 v[228:229], s[6:7], v[162:163], v[214:215]
	v_fmac_f64_e32 v[104:105], s[26:27], v[80:81]
	v_add_f64 v[106:107], v[216:217], v[106:107]
	v_add_f64 v[110:111], v[110:111], v[114:115]
	v_add_f64 v[114:115], v[236:237], -v[188:189]
	v_add_f64 v[118:119], v[118:119], v[130:131]
	v_add_f64 v[228:229], v[228:229], v[100:101]
	;; [unrolled: 1-line block ×3, first 2 shown]
	v_mul_f64 v[104:105], v[144:145], s[6:7]
	v_add_f64 v[106:107], v[106:107], v[110:111]
	v_add_f64 v[110:111], v[136:137], -v[194:195]
	v_add_f64 v[114:115], v[114:115], v[118:119]
	v_fmac_f64_e32 v[146:147], s[40:41], v[120:121]
	v_mul_f64 v[120:121], v[158:159], s[14:15]
	v_add_f64 v[104:105], v[104:105], -v[202:203]
	v_add_f64 v[110:111], v[110:111], v[114:115]
	v_add_f64 v[130:131], v[138:139], v[208:209]
	v_mul_f64 v[254:255], v[144:145], s[28:29]
	v_mul_f64 v[80:81], v[144:145], s[14:15]
	v_add_f64 v[100:101], v[122:123], v[100:101]
	v_fma_f64 v[144:145], v[144:145], s[34:35], -v[184:185]
	v_add_f64 v[104:105], v[104:105], v[110:111]
	v_add_f64 v[110:111], v[160:161], v[120:121]
	;; [unrolled: 1-line block ×5, first 2 shown]
	v_mul_f64 v[146:147], v[164:165], s[34:35]
	v_mul_f64 v[152:153], v[164:165], s[0:1]
	v_fma_f64 v[184:185], v[162:163], s[6:7], -v[214:215]
	v_mul_f64 v[164:165], v[164:165], s[28:29]
	v_add_f64 v[76:77], v[144:145], v[76:77]
	v_add_f64 v[118:119], v[150:151], v[240:241]
	;; [unrolled: 1-line block ×3, first 2 shown]
	v_mul_f64 v[68:69], v[158:159], s[28:29]
	v_mul_f64 v[122:123], v[162:163], s[34:35]
	;; [unrolled: 1-line block ×4, first 2 shown]
	v_add_f64 v[98:99], v[184:185], v[76:77]
	v_add_f64 v[76:77], v[220:221], v[164:165]
	;; [unrolled: 1-line block ×4, first 2 shown]
	v_add_f64 v[126:127], v[192:193], -v[126:127]
	v_add_f64 v[106:107], v[76:77], v[106:107]
	v_add_f64 v[76:77], v[162:163], -v[206:207]
	v_add_f64 v[114:115], v[114:115], v[118:119]
	;; [unrolled: 2-line block ×3, first 2 shown]
	v_add_f64 v[104:105], v[76:77], v[104:105]
	v_add_f64 v[76:77], v[166:167], v[152:153]
	;; [unrolled: 1-line block ×3, first 2 shown]
	v_add_f64 v[114:115], v[250:251], -v[134:135]
	v_add_f64 v[118:119], v[118:119], v[126:127]
	v_add_f64 v[120:121], v[76:77], v[110:111]
	v_add_f64 v[110:111], v[198:199], -v[140:141]
	v_add_f64 v[114:115], v[114:115], v[118:119]
	v_add_f64 v[70:71], v[70:71], v[182:183]
	;; [unrolled: 3-line block ×3, first 2 shown]
	v_add_f64 v[70:71], v[2:3], v[70:71]
	v_add_f64 v[76:77], v[158:159], -v[156:157]
	v_add_f64 v[80:81], v[80:81], v[110:111]
	v_add_f64 v[82:83], v[82:83], v[248:249]
	;; [unrolled: 1-line block ×7, first 2 shown]
	v_accvgpr_read_b32 v81, a3
	v_accvgpr_read_b32 v80, a2
	v_add_f64 v[80:81], v[80:81], -v[172:173]
	v_add_f64 v[80:81], v[0:1], v[80:81]
	v_add_f64 v[2:3], v[2:3], v[6:7]
	;; [unrolled: 1-line block ×16, first 2 shown]
	v_add_f64 v[72:73], v[176:177], -v[72:73]
	v_add_f64 v[2:3], v[2:3], v[34:35]
	v_add_f64 v[0:1], v[0:1], v[32:33]
	v_add_f64 v[76:77], v[124:125], v[146:147]
	v_add_f64 v[68:69], v[68:69], v[70:71]
	v_add_f64 v[78:79], v[180:181], -v[78:79]
	v_add_f64 v[72:73], v[72:73], v[80:81]
	v_add_f64 v[2:3], v[2:3], v[38:39]
	v_add_f64 v[0:1], v[0:1], v[36:37]
	v_add_f64 v[70:71], v[76:77], v[68:69]
	;; [unrolled: 5-line block ×3, first 2 shown]
	v_add_f64 v[74:75], v[254:255], -v[108:109]
	v_add_f64 v[72:73], v[76:77], v[72:73]
	v_add_f64 v[2:3], v[2:3], v[46:47]
	;; [unrolled: 1-line block ×3, first 2 shown]
	v_accvgpr_read_b32 v4, a1
	v_add_f64 v[100:101], v[238:239], v[100:101]
	v_add_f64 v[68:69], v[122:123], -v[116:117]
	v_add_f64 v[72:73], v[74:75], v[72:73]
	v_add_f64 v[2:3], v[2:3], v[50:51]
	;; [unrolled: 1-line block ×3, first 2 shown]
	v_lshlrev_b32_e32 v4, 4, v4
	v_add_f64 v[100:101], v[234:235], v[100:101]
	v_add_f64 v[68:69], v[68:69], v[72:73]
	ds_write_b128 v4, v[0:3]
	ds_write_b128 v4, v[68:71] offset:16
	ds_write_b128 v4, v[118:121] offset:32
	;; [unrolled: 1-line block ×12, first 2 shown]
.LBB0_7:
	s_or_b64 exec, exec, s[20:21]
	s_movk_i32 s0, 0x4f
	v_mul_lo_u16_sdwa v0, v169, s0 dst_sel:DWORD dst_unused:UNUSED_PAD src0_sel:BYTE_0 src1_sel:DWORD
	v_lshrrev_b16_e32 v136, 10, v0
	v_mul_lo_u16_e32 v0, 13, v136
	v_sub_u16_e32 v0, v169, v0
	v_and_b32_e32 v137, 0xff, v0
	s_movk_i32 s0, 0x90
	v_mov_b64_e32 v[0:1], s[10:11]
	v_mad_u64_u32 v[16:17], s[0:1], v137, s0, v[0:1]
	s_load_dwordx4 s[4:7], s[4:5], 0x0
	s_waitcnt lgkmcnt(0)
	s_barrier
	global_load_dwordx4 v[12:15], v[16:17], off
	global_load_dwordx4 v[8:11], v[16:17], off offset:16
	global_load_dwordx4 v[4:7], v[16:17], off offset:32
	;; [unrolled: 1-line block ×8, first 2 shown]
	ds_read_b128 v[16:19], v168
	ds_read_b128 v[36:39], v168 offset:2704
	ds_read_b128 v[44:47], v168 offset:5408
	;; [unrolled: 1-line block ×9, first 2 shown]
	s_mov_b32 s18, 0x134454ff
	s_mov_b32 s19, 0x3fee6f0e
	s_mov_b32 s20, 0x4755a5e
	s_mov_b32 s15, 0xbfee6f0e
	s_mov_b32 s14, s18
	s_mov_b32 s21, 0x3fe2cf23
	s_mov_b32 s0, 0x372fe950
	s_mov_b32 s17, 0xbfe2cf23
	s_mov_b32 s16, s20
	s_mov_b32 s1, 0x3fd3c6ef
	s_mov_b32 s22, 0x9b97f4a8
	s_mov_b32 s23, 0x3fe9e377
	s_waitcnt lgkmcnt(0)
	s_barrier
	s_waitcnt vmcnt(8)
	v_mul_f64 v[78:79], v[36:37], v[14:15]
	s_waitcnt vmcnt(7)
	v_mul_f64 v[82:83], v[44:45], v[10:11]
	;; [unrolled: 2-line block ×4, first 2 shown]
	v_mul_f64 v[80:81], v[46:47], v[10:11]
	s_waitcnt vmcnt(3)
	v_mul_f64 v[108:109], v[62:63], v[30:31]
	v_mul_f64 v[96:97], v[50:51], v[6:7]
	;; [unrolled: 1-line block ×3, first 2 shown]
	s_waitcnt vmcnt(1)
	v_mul_f64 v[116:117], v[70:71], v[22:23]
	v_mul_f64 v[118:119], v[68:69], v[22:23]
	v_fmac_f64_e32 v[82:83], v[46:47], v[8:9]
	v_fmac_f64_e32 v[98:99], v[50:51], v[4:5]
	v_fma_f64 v[46:47], v[52:53], v[0:1], -v[100:101]
	v_fma_f64 v[50:51], v[60:61], v[28:29], -v[108:109]
	v_mul_f64 v[76:77], v[38:39], v[14:15]
	v_mul_f64 v[110:111], v[60:61], v[30:31]
	;; [unrolled: 1-line block ×3, first 2 shown]
	v_fmac_f64_e32 v[78:79], v[38:39], v[12:13]
	v_fma_f64 v[38:39], v[44:45], v[8:9], -v[80:81]
	v_fmac_f64_e32 v[102:103], v[54:55], v[0:1]
	v_fma_f64 v[54:55], v[68:69], v[20:21], -v[116:117]
	v_fmac_f64_e32 v[118:119], v[70:71], v[20:21]
	v_add_f64 v[60:61], v[46:47], v[50:51]
	v_mul_f64 v[112:113], v[66:67], v[26:27]
	v_fmac_f64_e32 v[110:111], v[62:63], v[28:29]
	v_fmac_f64_e32 v[114:115], v[66:67], v[24:25]
	v_add_f64 v[62:63], v[82:83], -v[118:119]
	v_add_f64 v[66:67], v[38:39], -v[46:47]
	;; [unrolled: 1-line block ×3, first 2 shown]
	v_fma_f64 v[60:61], -0.5, v[60:61], v[16:17]
	v_fma_f64 v[52:53], v[64:65], v[24:25], -v[112:113]
	v_add_f64 v[64:65], v[102:103], -v[110:111]
	v_add_f64 v[66:67], v[66:67], v[68:69]
	v_fma_f64 v[68:69], s[18:19], v[62:63], v[60:61]
	v_fmac_f64_e32 v[60:61], s[14:15], v[62:63]
	v_fmac_f64_e32 v[68:69], s[20:21], v[64:65]
	;; [unrolled: 1-line block ×3, first 2 shown]
	v_mul_f64 v[106:107], v[56:57], v[34:35]
	v_fmac_f64_e32 v[68:69], s[0:1], v[66:67]
	v_fmac_f64_e32 v[60:61], s[0:1], v[66:67]
	v_add_f64 v[66:67], v[38:39], v[54:55]
	v_mul_f64 v[104:105], v[58:59], v[34:35]
	s_waitcnt vmcnt(0)
	v_mul_f64 v[120:121], v[74:75], v[42:43]
	v_fmac_f64_e32 v[106:107], v[58:59], v[32:33]
	v_add_f64 v[58:59], v[16:17], v[38:39]
	v_fmac_f64_e32 v[16:17], -0.5, v[66:67]
	v_mul_f64 v[122:123], v[72:73], v[42:43]
	v_fma_f64 v[44:45], v[48:49], v[4:5], -v[96:97]
	v_fma_f64 v[48:49], v[56:57], v[32:33], -v[104:105]
	;; [unrolled: 1-line block ×3, first 2 shown]
	v_add_f64 v[58:59], v[58:59], v[46:47]
	v_fma_f64 v[66:67], s[14:15], v[64:65], v[16:17]
	v_add_f64 v[70:71], v[46:47], -v[38:39]
	v_add_f64 v[72:73], v[50:51], -v[54:55]
	v_fmac_f64_e32 v[16:17], s[18:19], v[64:65]
	v_add_f64 v[64:65], v[102:103], v[110:111]
	v_add_f64 v[58:59], v[58:59], v[50:51]
	v_fmac_f64_e32 v[66:67], s[20:21], v[62:63]
	v_add_f64 v[70:71], v[70:71], v[72:73]
	v_fmac_f64_e32 v[16:17], s[16:17], v[62:63]
	v_fma_f64 v[64:65], -0.5, v[64:65], v[18:19]
	v_add_f64 v[38:39], v[38:39], -v[54:55]
	v_add_f64 v[58:59], v[58:59], v[54:55]
	v_fmac_f64_e32 v[66:67], s[0:1], v[70:71]
	v_fmac_f64_e32 v[16:17], s[0:1], v[70:71]
	v_fma_f64 v[54:55], s[14:15], v[38:39], v[64:65]
	v_add_f64 v[46:47], v[46:47], -v[50:51]
	v_add_f64 v[50:51], v[82:83], -v[102:103]
	;; [unrolled: 1-line block ×3, first 2 shown]
	v_fmac_f64_e32 v[64:65], s[18:19], v[38:39]
	v_fmac_f64_e32 v[54:55], s[16:17], v[46:47]
	v_add_f64 v[50:51], v[50:51], v[70:71]
	v_fmac_f64_e32 v[64:65], s[20:21], v[46:47]
	v_fmac_f64_e32 v[54:55], s[0:1], v[50:51]
	;; [unrolled: 1-line block ×3, first 2 shown]
	v_add_f64 v[50:51], v[82:83], v[118:119]
	v_add_f64 v[62:63], v[18:19], v[82:83]
	v_fmac_f64_e32 v[18:19], -0.5, v[50:51]
	v_fma_f64 v[50:51], s[18:19], v[46:47], v[18:19]
	v_add_f64 v[70:71], v[102:103], -v[82:83]
	v_add_f64 v[72:73], v[110:111], -v[118:119]
	v_fmac_f64_e32 v[18:19], s[14:15], v[46:47]
	v_fma_f64 v[36:37], v[36:37], v[12:13], -v[76:77]
	v_fmac_f64_e32 v[122:123], v[74:75], v[40:41]
	v_fmac_f64_e32 v[50:51], s[16:17], v[38:39]
	v_add_f64 v[70:71], v[70:71], v[72:73]
	v_fmac_f64_e32 v[18:19], s[20:21], v[38:39]
	v_add_f64 v[46:47], v[48:49], v[52:53]
	v_fmac_f64_e32 v[50:51], s[0:1], v[70:71]
	v_fmac_f64_e32 v[18:19], s[0:1], v[70:71]
	v_fma_f64 v[46:47], -0.5, v[46:47], v[36:37]
	v_add_f64 v[70:71], v[98:99], -v[122:123]
	v_fma_f64 v[72:73], s[18:19], v[70:71], v[46:47]
	v_add_f64 v[74:75], v[106:107], -v[114:115]
	v_add_f64 v[76:77], v[44:45], -v[48:49]
	v_add_f64 v[80:81], v[56:57], -v[52:53]
	v_fmac_f64_e32 v[46:47], s[14:15], v[70:71]
	v_fmac_f64_e32 v[72:73], s[20:21], v[74:75]
	v_add_f64 v[76:77], v[76:77], v[80:81]
	v_fmac_f64_e32 v[46:47], s[16:17], v[74:75]
	v_fmac_f64_e32 v[72:73], s[0:1], v[76:77]
	;; [unrolled: 1-line block ×3, first 2 shown]
	v_add_f64 v[76:77], v[44:45], v[56:57]
	v_add_f64 v[38:39], v[36:37], v[44:45]
	v_fmac_f64_e32 v[36:37], -0.5, v[76:77]
	v_add_f64 v[38:39], v[38:39], v[48:49]
	v_fma_f64 v[76:77], s[14:15], v[74:75], v[36:37]
	v_add_f64 v[80:81], v[48:49], -v[44:45]
	v_add_f64 v[82:83], v[52:53], -v[56:57]
	v_fmac_f64_e32 v[36:37], s[18:19], v[74:75]
	v_add_f64 v[74:75], v[106:107], v[114:115]
	v_add_f64 v[38:39], v[38:39], v[52:53]
	v_fmac_f64_e32 v[76:77], s[20:21], v[70:71]
	v_add_f64 v[80:81], v[80:81], v[82:83]
	v_fmac_f64_e32 v[36:37], s[16:17], v[70:71]
	v_fma_f64 v[74:75], -0.5, v[74:75], v[78:79]
	v_add_f64 v[44:45], v[44:45], -v[56:57]
	v_add_f64 v[38:39], v[38:39], v[56:57]
	v_fmac_f64_e32 v[76:77], s[0:1], v[80:81]
	v_fmac_f64_e32 v[36:37], s[0:1], v[80:81]
	v_fma_f64 v[56:57], s[14:15], v[44:45], v[74:75]
	v_add_f64 v[48:49], v[48:49], -v[52:53]
	v_add_f64 v[52:53], v[98:99], -v[106:107]
	;; [unrolled: 1-line block ×3, first 2 shown]
	v_fmac_f64_e32 v[74:75], s[18:19], v[44:45]
	v_fmac_f64_e32 v[56:57], s[16:17], v[48:49]
	v_add_f64 v[52:53], v[52:53], v[80:81]
	v_fmac_f64_e32 v[74:75], s[20:21], v[48:49]
	v_fmac_f64_e32 v[56:57], s[0:1], v[52:53]
	;; [unrolled: 1-line block ×3, first 2 shown]
	v_add_f64 v[52:53], v[98:99], v[122:123]
	v_add_f64 v[70:71], v[78:79], v[98:99]
	v_fmac_f64_e32 v[78:79], -0.5, v[52:53]
	v_fma_f64 v[52:53], s[18:19], v[48:49], v[78:79]
	v_fmac_f64_e32 v[78:79], s[14:15], v[48:49]
	v_fmac_f64_e32 v[52:53], s[16:17], v[44:45]
	v_add_f64 v[80:81], v[106:107], -v[98:99]
	v_add_f64 v[82:83], v[114:115], -v[122:123]
	v_fmac_f64_e32 v[78:79], s[20:21], v[44:45]
	v_mul_f64 v[44:45], v[56:57], s[20:21]
	v_add_f64 v[80:81], v[80:81], v[82:83]
	v_fmac_f64_e32 v[44:45], s[22:23], v[72:73]
	v_mul_f64 v[72:73], v[72:73], s[16:17]
	v_fmac_f64_e32 v[52:53], s[0:1], v[80:81]
	v_fmac_f64_e32 v[78:79], s[0:1], v[80:81]
	;; [unrolled: 1-line block ×3, first 2 shown]
	v_mul_f64 v[56:57], v[76:77], s[14:15]
	v_add_f64 v[62:63], v[62:63], v[102:103]
	v_add_f64 v[70:71], v[70:71], v[106:107]
	v_mul_f64 v[48:49], v[52:53], s[18:19]
	v_mul_f64 v[80:81], v[36:37], s[0:1]
	v_fmac_f64_e32 v[56:57], s[0:1], v[52:53]
	v_mul_f64 v[52:53], v[78:79], s[0:1]
	v_add_f64 v[62:63], v[62:63], v[110:111]
	v_add_f64 v[70:71], v[70:71], v[114:115]
	v_fma_f64 v[80:81], v[78:79], s[18:19], -v[80:81]
	v_mul_f64 v[82:83], v[46:47], s[22:23]
	v_fma_f64 v[36:37], v[36:37], s[14:15], -v[52:53]
	v_mul_f64 v[52:53], v[74:75], s[22:23]
	v_add_f64 v[62:63], v[62:63], v[118:119]
	v_add_f64 v[70:71], v[70:71], v[122:123]
	v_fmac_f64_e32 v[48:49], s[0:1], v[76:77]
	v_add_f64 v[108:109], v[16:17], v[80:81]
	v_fma_f64 v[82:83], v[74:75], s[20:21], -v[82:83]
	v_fma_f64 v[46:47], v[46:47], s[16:17], -v[52:53]
	v_add_f64 v[128:129], v[16:17], -v[80:81]
	v_mul_u32_u24_e32 v16, 0x82, v136
	v_add_f64 v[96:97], v[58:59], v[38:39]
	v_add_f64 v[100:101], v[68:69], v[44:45]
	;; [unrolled: 1-line block ×9, first 2 shown]
	v_add_f64 v[116:117], v[58:59], -v[38:39]
	v_add_f64 v[120:121], v[68:69], -v[44:45]
	;; [unrolled: 1-line block ×9, first 2 shown]
	v_add_lshl_u32 v52, v16, v137, 4
	ds_write_b128 v52, v[96:99]
	ds_write_b128 v52, v[100:103] offset:208
	ds_write_b128 v52, v[104:107] offset:416
	ds_write_b128 v52, v[108:111] offset:624
	ds_write_b128 v52, v[112:115] offset:832
	ds_write_b128 v52, v[116:119] offset:1040
	ds_write_b128 v52, v[120:123] offset:1248
	ds_write_b128 v52, v[124:127] offset:1456
	ds_write_b128 v52, v[128:131] offset:1664
	ds_write_b128 v52, v[132:135] offset:1872
	s_waitcnt lgkmcnt(0)
	s_barrier
	s_and_saveexec_b64 s[0:1], s[2:3]
	s_cbranch_execz .LBB0_9
; %bb.8:
	ds_read_b128 v[96:99], v168
	ds_read_b128 v[100:103], v168 offset:2080
	ds_read_b128 v[104:107], v168 offset:4160
	;; [unrolled: 1-line block ×12, first 2 shown]
.LBB0_9:
	s_or_b64 exec, exec, s[0:1]
	v_add_u32_e32 v16, 0xffffff7e, v169
	v_cndmask_b32_e64 v16, v16, v169, s[2:3]
	v_mul_hi_i32_i24_e32 v17, 0xc0, v16
	v_mul_i32_i24_e32 v16, 0xc0, v16
	v_lshl_add_u64 v[16:17], s[10:11], 0, v[16:17]
	global_load_dwordx4 v[56:59], v[16:17], off offset:1872
	global_load_dwordx4 v[60:63], v[16:17], off offset:1888
	;; [unrolled: 1-line block ×12, first 2 shown]
	s_mov_b32 s26, 0x42a4c3d2
	s_mov_b32 s36, 0x66966769
	;; [unrolled: 1-line block ×30, first 2 shown]
	s_waitcnt vmcnt(11) lgkmcnt(11)
	v_mul_f64 v[36:37], v[102:103], v[58:59]
	v_mul_f64 v[48:49], v[100:101], v[58:59]
	s_waitcnt vmcnt(10) lgkmcnt(10)
	v_mul_f64 v[38:39], v[106:107], v[62:63]
	v_mul_f64 v[50:51], v[104:105], v[62:63]
	v_fma_f64 v[166:167], v[100:101], v[56:57], -v[36:37]
	v_fmac_f64_e32 v[48:49], v[102:103], v[56:57]
	s_waitcnt vmcnt(9) lgkmcnt(9)
	v_mul_f64 v[54:55], v[110:111], v[70:71]
	v_mul_f64 v[44:45], v[108:109], v[70:71]
	v_fma_f64 v[170:171], v[104:105], v[60:61], -v[38:39]
	v_fmac_f64_e32 v[50:51], v[106:107], v[60:61]
	s_waitcnt vmcnt(1) lgkmcnt(1)
	v_mul_f64 v[160:161], v[88:89], v[78:79]
	s_waitcnt vmcnt(0) lgkmcnt(0)
	v_mul_f64 v[164:165], v[84:85], v[74:75]
	v_mul_f64 v[158:159], v[90:91], v[78:79]
	;; [unrolled: 1-line block ×3, first 2 shown]
	v_fmac_f64_e32 v[160:161], v[90:91], v[76:77]
	v_fmac_f64_e32 v[164:165], v[86:87], v[72:73]
	v_add_f64 v[86:87], v[96:97], v[166:167]
	v_add_f64 v[90:91], v[98:99], v[48:49]
	v_mul_f64 v[144:145], v[114:115], v[66:67]
	v_mul_f64 v[16:17], v[112:113], v[66:67]
	v_fma_f64 v[54:55], v[108:109], v[68:69], -v[54:55]
	v_fmac_f64_e32 v[44:45], v[110:111], v[68:69]
	v_add_f64 v[86:87], v[86:87], v[170:171]
	v_add_f64 v[90:91], v[90:91], v[50:51]
	v_mul_f64 v[146:147], v[118:119], v[174:175]
	v_mul_f64 v[140:141], v[116:117], v[174:175]
	v_fma_f64 v[36:37], v[112:113], v[64:65], -v[144:145]
	;; [unrolled: 6-line block ×7, first 2 shown]
	v_fmac_f64_e32 v[18:19], v[134:135], v[80:81]
	v_add_f64 v[86:87], v[86:87], v[106:107]
	v_add_f64 v[90:91], v[90:91], v[142:143]
	v_fma_f64 v[92:93], v[92:93], v[180:181], -v[156:157]
	v_fmac_f64_e32 v[46:47], v[94:95], v[180:181]
	v_fma_f64 v[84:85], v[84:85], v[72:73], -v[162:163]
	v_add_f64 v[86:87], v[86:87], v[38:39]
	v_add_f64 v[90:91], v[90:91], v[18:19]
	v_fma_f64 v[88:89], v[88:89], v[76:77], -v[158:159]
	v_add_f64 v[108:109], v[48:49], v[164:165]
	v_add_f64 v[110:111], v[166:167], -v[84:85]
	v_add_f64 v[48:49], v[48:49], -v[164:165]
	v_add_f64 v[86:87], v[86:87], v[92:93]
	v_add_f64 v[90:91], v[90:91], v[46:47]
	;; [unrolled: 1-line block ×3, first 2 shown]
	v_mul_f64 v[112:113], v[48:49], s[10:11]
	v_add_f64 v[86:87], v[86:87], v[88:89]
	v_add_f64 v[90:91], v[90:91], v[160:161]
	v_mul_f64 v[114:115], v[110:111], s[10:11]
	v_mul_f64 v[118:119], v[48:49], s[26:27]
	;; [unrolled: 1-line block ×11, first 2 shown]
	v_add_f64 v[84:85], v[86:87], v[84:85]
	v_add_f64 v[86:87], v[90:91], v[164:165]
	v_fma_f64 v[90:91], v[94:95], s[0:1], -v[112:113]
	v_fma_f64 v[116:117], s[0:1], v[108:109], v[114:115]
	v_fmac_f64_e32 v[112:113], s[0:1], v[94:95]
	v_fma_f64 v[114:115], v[108:109], s[0:1], -v[114:115]
	v_fma_f64 v[120:121], v[94:95], s[16:17], -v[118:119]
	v_fma_f64 v[124:125], s[16:17], v[108:109], v[122:123]
	v_fmac_f64_e32 v[118:119], s[16:17], v[94:95]
	v_fma_f64 v[122:123], v[108:109], s[16:17], -v[122:123]
	;; [unrolled: 4-line block ×6, first 2 shown]
	v_add_f64 v[116:117], v[98:99], v[116:117]
	v_add_f64 v[114:115], v[98:99], v[114:115]
	;; [unrolled: 1-line block ×13, first 2 shown]
	v_add_f64 v[50:51], v[50:51], -v[160:161]
	v_add_f64 v[90:91], v[96:97], v[90:91]
	v_add_f64 v[112:113], v[96:97], v[112:113]
	;; [unrolled: 1-line block ×13, first 2 shown]
	v_mul_f64 v[108:109], v[50:51], s[26:27]
	v_add_f64 v[88:89], v[170:171], -v[88:89]
	v_fma_f64 v[110:111], v[96:97], s[16:17], -v[108:109]
	v_add_f64 v[90:91], v[110:111], v[90:91]
	v_mul_f64 v[110:111], v[88:89], s[26:27]
	v_fmac_f64_e32 v[108:109], s[16:17], v[96:97]
	v_fma_f64 v[160:161], s[16:17], v[98:99], v[110:111]
	v_add_f64 v[108:109], v[108:109], v[112:113]
	v_fma_f64 v[110:111], v[98:99], s[16:17], -v[110:111]
	v_mul_f64 v[112:113], v[50:51], s[18:19]
	v_add_f64 v[110:111], v[110:111], v[114:115]
	v_fma_f64 v[114:115], v[96:97], s[20:21], -v[112:113]
	v_add_f64 v[114:115], v[114:115], v[120:121]
	v_mul_f64 v[120:121], v[88:89], s[18:19]
	v_fmac_f64_e32 v[112:113], s[20:21], v[96:97]
	v_add_f64 v[116:117], v[160:161], v[116:117]
	v_fma_f64 v[160:161], s[20:21], v[98:99], v[120:121]
	v_add_f64 v[112:113], v[112:113], v[118:119]
	v_fma_f64 v[118:119], v[98:99], s[20:21], -v[120:121]
	v_mul_f64 v[120:121], v[50:51], s[28:29]
	v_add_f64 v[118:119], v[118:119], v[122:123]
	v_fma_f64 v[122:123], v[96:97], s[30:31], -v[120:121]
	v_add_f64 v[122:123], v[122:123], v[128:129]
	v_mul_f64 v[128:129], v[88:89], s[28:29]
	v_fmac_f64_e32 v[120:121], s[30:31], v[96:97]
	v_add_f64 v[124:125], v[160:161], v[124:125]
	v_fma_f64 v[160:161], s[30:31], v[98:99], v[128:129]
	v_add_f64 v[120:121], v[120:121], v[126:127]
	v_fma_f64 v[126:127], v[98:99], s[30:31], -v[128:129]
	v_mul_f64 v[128:129], v[50:51], s[38:39]
	v_add_f64 v[126:127], v[126:127], v[130:131]
	v_fma_f64 v[130:131], v[96:97], s[24:25], -v[128:129]
	v_add_f64 v[130:131], v[130:131], v[144:145]
	v_mul_f64 v[144:145], v[88:89], s[38:39]
	v_fmac_f64_e32 v[128:129], s[24:25], v[96:97]
	v_add_f64 v[132:133], v[160:161], v[132:133]
	v_fma_f64 v[160:161], s[24:25], v[98:99], v[144:145]
	v_add_f64 v[128:129], v[128:129], v[134:135]
	v_fma_f64 v[134:135], v[98:99], s[24:25], -v[144:145]
	v_mul_f64 v[144:145], v[50:51], s[34:35]
	v_add_f64 v[134:135], v[134:135], v[146:147]
	v_fma_f64 v[146:147], v[96:97], s[14:15], -v[144:145]
	s_mov_b32 s11, 0x3fddbe06
	v_add_f64 v[146:147], v[146:147], v[152:153]
	v_mul_f64 v[152:153], v[88:89], s[34:35]
	v_fmac_f64_e32 v[144:145], s[14:15], v[96:97]
	v_mul_f64 v[50:51], v[50:51], s[10:11]
	v_add_f64 v[148:149], v[160:161], v[148:149]
	v_fma_f64 v[160:161], s[14:15], v[98:99], v[152:153]
	v_add_f64 v[144:145], v[144:145], v[150:151]
	v_fma_f64 v[150:151], v[98:99], s[14:15], -v[152:153]
	v_fma_f64 v[152:153], v[96:97], s[0:1], -v[50:51]
	v_mul_f64 v[88:89], v[88:89], s[10:11]
	v_fmac_f64_e32 v[50:51], s[0:1], v[96:97]
	v_add_f64 v[48:49], v[50:51], v[48:49]
	v_fma_f64 v[50:51], v[98:99], s[0:1], -v[88:89]
	v_add_f64 v[50:51], v[50:51], v[94:95]
	v_add_f64 v[94:95], v[44:45], v[46:47]
	v_add_f64 v[44:45], v[44:45], -v[46:47]
	v_add_f64 v[150:151], v[150:151], v[154:155]
	v_fma_f64 v[154:155], s[0:1], v[98:99], v[88:89]
	v_add_f64 v[88:89], v[54:55], v[92:93]
	v_mul_f64 v[46:47], v[44:45], s[36:37]
	v_add_f64 v[54:55], v[54:55], -v[92:93]
	v_fma_f64 v[92:93], v[88:89], s[14:15], -v[46:47]
	v_add_f64 v[90:91], v[92:93], v[90:91]
	v_mul_f64 v[92:93], v[54:55], s[36:37]
	v_fmac_f64_e32 v[46:47], s[14:15], v[88:89]
	v_mul_f64 v[98:99], v[44:45], s[28:29]
	v_fma_f64 v[96:97], s[14:15], v[94:95], v[92:93]
	v_add_f64 v[46:47], v[46:47], v[108:109]
	v_fma_f64 v[92:93], v[94:95], s[14:15], -v[92:93]
	v_fma_f64 v[108:109], v[88:89], s[30:31], -v[98:99]
	v_fmac_f64_e32 v[98:99], s[30:31], v[88:89]
	v_add_f64 v[92:93], v[92:93], v[110:111]
	v_mul_f64 v[110:111], v[54:55], s[28:29]
	v_add_f64 v[98:99], v[98:99], v[112:113]
	v_mul_f64 v[112:113], v[44:45], s[40:41]
	v_add_f64 v[96:97], v[96:97], v[116:117]
	v_add_f64 v[108:109], v[108:109], v[114:115]
	v_fma_f64 v[114:115], s[30:31], v[94:95], v[110:111]
	v_fma_f64 v[110:111], v[94:95], s[30:31], -v[110:111]
	v_fma_f64 v[116:117], v[88:89], s[20:21], -v[112:113]
	v_fmac_f64_e32 v[112:113], s[20:21], v[88:89]
	v_add_f64 v[110:111], v[110:111], v[118:119]
	v_mul_f64 v[118:119], v[54:55], s[40:41]
	v_add_f64 v[112:113], v[112:113], v[120:121]
	v_mul_f64 v[120:121], v[44:45], s[10:11]
	v_add_f64 v[114:115], v[114:115], v[124:125]
	v_add_f64 v[116:117], v[116:117], v[122:123]
	v_fma_f64 v[122:123], s[20:21], v[94:95], v[118:119]
	;; [unrolled: 10-line block ×3, first 2 shown]
	v_fma_f64 v[126:127], v[94:95], s[0:1], -v[126:127]
	v_fma_f64 v[132:133], v[88:89], s[16:17], -v[128:129]
	v_fmac_f64_e32 v[128:129], s[16:17], v[88:89]
	v_mul_f64 v[44:45], v[44:45], s[22:23]
	v_add_f64 v[126:127], v[126:127], v[134:135]
	v_mul_f64 v[134:135], v[54:55], s[26:27]
	v_add_f64 v[128:129], v[128:129], v[144:145]
	v_fma_f64 v[144:145], v[88:89], s[24:25], -v[44:45]
	v_mul_f64 v[54:55], v[54:55], s[22:23]
	v_fmac_f64_e32 v[44:45], s[24:25], v[88:89]
	v_add_f64 v[130:131], v[130:131], v[148:149]
	v_fma_f64 v[148:149], s[24:25], v[94:95], v[54:55]
	v_add_f64 v[44:45], v[44:45], v[48:49]
	v_fma_f64 v[48:49], v[94:95], s[24:25], -v[54:55]
	v_add_f64 v[54:55], v[16:17], v[18:19]
	v_add_f64 v[16:17], v[16:17], -v[18:19]
	v_add_f64 v[48:49], v[48:49], v[50:51]
	v_add_f64 v[50:51], v[36:37], v[38:39]
	v_add_f64 v[36:37], v[36:37], -v[38:39]
	v_mul_f64 v[18:19], v[16:17], s[18:19]
	v_fma_f64 v[38:39], v[50:51], s[20:21], -v[18:19]
	v_mul_f64 v[88:89], v[36:37], s[18:19]
	v_fmac_f64_e32 v[18:19], s[20:21], v[50:51]
	v_add_f64 v[38:39], v[38:39], v[90:91]
	v_fma_f64 v[90:91], s[20:21], v[54:55], v[88:89]
	v_add_f64 v[18:19], v[18:19], v[46:47]
	v_fma_f64 v[46:47], v[54:55], s[20:21], -v[88:89]
	v_mul_f64 v[88:89], v[16:17], s[38:39]
	v_add_f64 v[132:133], v[132:133], v[146:147]
	v_fma_f64 v[146:147], s[16:17], v[94:95], v[134:135]
	v_fma_f64 v[134:135], v[94:95], s[16:17], -v[134:135]
	v_add_f64 v[46:47], v[46:47], v[92:93]
	v_fma_f64 v[92:93], v[50:51], s[24:25], -v[88:89]
	v_mul_f64 v[94:95], v[36:37], s[38:39]
	v_fmac_f64_e32 v[88:89], s[24:25], v[50:51]
	v_add_f64 v[90:91], v[90:91], v[96:97]
	v_fma_f64 v[96:97], s[24:25], v[54:55], v[94:95]
	v_add_f64 v[88:89], v[88:89], v[98:99]
	v_fma_f64 v[94:95], v[54:55], s[24:25], -v[94:95]
	v_mul_f64 v[98:99], v[16:17], s[10:11]
	v_add_f64 v[92:93], v[92:93], v[108:109]
	v_add_f64 v[94:95], v[94:95], v[110:111]
	v_fma_f64 v[108:109], v[50:51], s[0:1], -v[98:99]
	v_mul_f64 v[110:111], v[36:37], s[10:11]
	v_fmac_f64_e32 v[98:99], s[0:1], v[50:51]
	v_add_f64 v[96:97], v[96:97], v[114:115]
	v_fma_f64 v[114:115], s[0:1], v[54:55], v[110:111]
	v_add_f64 v[98:99], v[98:99], v[112:113]
	v_fma_f64 v[110:111], v[54:55], s[0:1], -v[110:111]
	v_mul_f64 v[112:113], v[16:17], s[36:37]
	v_add_f64 v[108:109], v[108:109], v[116:117]
	v_add_f64 v[110:111], v[110:111], v[118:119]
	v_fma_f64 v[116:117], v[50:51], s[14:15], -v[112:113]
	v_mul_f64 v[118:119], v[36:37], s[36:37]
	v_fmac_f64_e32 v[112:113], s[14:15], v[50:51]
	s_mov_b32 s39, 0x3fcea1e5
	s_mov_b32 s38, s28
	v_add_f64 v[114:115], v[114:115], v[122:123]
	v_fma_f64 v[122:123], s[14:15], v[54:55], v[118:119]
	v_add_f64 v[112:113], v[112:113], v[120:121]
	v_fma_f64 v[118:119], v[54:55], s[14:15], -v[118:119]
	v_mul_f64 v[120:121], v[16:17], s[38:39]
	s_mov_b32 s37, 0x3fea55e2
	s_mov_b32 s36, s26
	v_add_f64 v[116:117], v[116:117], v[124:125]
	v_add_f64 v[118:119], v[118:119], v[126:127]
	v_fma_f64 v[124:125], v[50:51], s[30:31], -v[120:121]
	v_mul_f64 v[126:127], v[36:37], s[38:39]
	v_fmac_f64_e32 v[120:121], s[30:31], v[50:51]
	v_mul_f64 v[16:17], v[16:17], s[36:37]
	v_mul_f64 v[36:37], v[36:37], s[36:37]
	v_add_f64 v[122:123], v[122:123], v[130:131]
	v_add_f64 v[124:125], v[124:125], v[132:133]
	v_fma_f64 v[130:131], s[30:31], v[54:55], v[126:127]
	v_add_f64 v[120:121], v[120:121], v[128:129]
	v_fma_f64 v[126:127], v[54:55], s[30:31], -v[126:127]
	v_fma_f64 v[128:129], v[50:51], s[16:17], -v[16:17]
	v_fma_f64 v[132:133], s[16:17], v[54:55], v[36:37]
	v_fmac_f64_e32 v[16:17], s[16:17], v[50:51]
	v_fma_f64 v[36:37], v[54:55], s[16:17], -v[36:37]
	v_add_f64 v[54:55], v[140:141], -v[142:143]
	v_add_f64 v[16:17], v[16:17], v[44:45]
	v_add_f64 v[44:45], v[104:105], v[106:107]
	v_add_f64 v[50:51], v[104:105], -v[106:107]
	v_mul_f64 v[104:105], v[54:55], s[22:23]
	v_fma_f64 v[106:107], v[44:45], s[24:25], -v[104:105]
	v_add_f64 v[36:37], v[36:37], v[48:49]
	v_add_f64 v[48:49], v[140:141], v[142:143]
	;; [unrolled: 1-line block ×3, first 2 shown]
	v_mul_f64 v[106:107], v[50:51], s[22:23]
	v_fmac_f64_e32 v[104:105], s[24:25], v[44:45]
	v_add_f64 v[18:19], v[104:105], v[18:19]
	v_fma_f64 v[104:105], v[48:49], s[24:25], -v[106:107]
	v_add_f64 v[134:135], v[134:135], v[150:151]
	v_add_f64 v[46:47], v[104:105], v[46:47]
	v_mul_f64 v[104:105], v[54:55], s[34:35]
	v_add_f64 v[126:127], v[126:127], v[134:135]
	v_fma_f64 v[134:135], s[24:25], v[48:49], v[106:107]
	v_fma_f64 v[106:107], v[44:45], s[14:15], -v[104:105]
	v_add_f64 v[92:93], v[106:107], v[92:93]
	v_mul_f64 v[106:107], v[50:51], s[34:35]
	v_fmac_f64_e32 v[104:105], s[14:15], v[44:45]
	v_add_f64 v[104:105], v[104:105], v[88:89]
	v_fma_f64 v[88:89], v[48:49], s[14:15], -v[106:107]
	v_add_f64 v[90:91], v[134:135], v[90:91]
	v_fma_f64 v[134:135], s[14:15], v[48:49], v[106:107]
	v_add_f64 v[106:107], v[88:89], v[94:95]
	v_mul_f64 v[88:89], v[54:55], s[26:27]
	v_fma_f64 v[94:95], v[44:45], s[16:17], -v[88:89]
	v_add_f64 v[108:109], v[94:95], v[108:109]
	v_mul_f64 v[94:95], v[50:51], s[26:27]
	v_fmac_f64_e32 v[88:89], s[16:17], v[44:45]
	v_add_f64 v[140:141], v[88:89], v[98:99]
	v_fma_f64 v[88:89], v[48:49], s[16:17], -v[94:95]
	v_add_f64 v[110:111], v[88:89], v[110:111]
	v_mul_f64 v[88:89], v[54:55], s[38:39]
	v_add_f64 v[156:157], v[160:161], v[156:157]
	v_add_f64 v[96:97], v[134:135], v[96:97]
	v_fma_f64 v[134:135], s[16:17], v[48:49], v[94:95]
	v_fma_f64 v[94:95], v[44:45], s[30:31], -v[88:89]
	v_add_f64 v[154:155], v[154:155], v[162:163]
	v_add_f64 v[146:147], v[146:147], v[156:157]
	;; [unrolled: 1-line block ×3, first 2 shown]
	v_mul_f64 v[94:95], v[50:51], s[38:39]
	v_fmac_f64_e32 v[88:89], s[30:31], v[44:45]
	v_add_f64 v[148:149], v[148:149], v[154:155]
	v_add_f64 v[130:131], v[130:131], v[146:147]
	;; [unrolled: 1-line block ×3, first 2 shown]
	v_fma_f64 v[88:89], v[48:49], s[30:31], -v[94:95]
	v_add_f64 v[132:133], v[132:133], v[148:149]
	v_add_f64 v[148:149], v[88:89], v[118:119]
	v_mul_f64 v[88:89], v[54:55], s[10:11]
	v_fma_f64 v[98:99], s[30:31], v[48:49], v[94:95]
	v_fma_f64 v[94:95], v[44:45], s[0:1], -v[88:89]
	v_add_f64 v[152:153], v[152:153], v[158:159]
	v_add_f64 v[150:151], v[94:95], v[124:125]
	v_mul_f64 v[94:95], v[50:51], s[10:11]
	v_fmac_f64_e32 v[88:89], s[0:1], v[44:45]
	v_add_f64 v[144:145], v[144:145], v[152:153]
	v_add_f64 v[152:153], v[88:89], v[120:121]
	v_fma_f64 v[88:89], v[48:49], s[0:1], -v[94:95]
	v_mul_f64 v[54:55], v[54:55], s[18:19]
	v_add_f64 v[154:155], v[88:89], v[126:127]
	v_fma_f64 v[88:89], v[44:45], s[20:21], -v[54:55]
	v_mul_f64 v[50:51], v[50:51], s[18:19]
	v_fmac_f64_e32 v[54:55], s[20:21], v[44:45]
	v_add_f64 v[128:129], v[128:129], v[144:145]
	v_add_f64 v[16:17], v[54:55], v[16:17]
	v_fma_f64 v[44:45], v[48:49], s[20:21], -v[50:51]
	v_add_f64 v[54:55], v[136:137], -v[138:139]
	v_add_f64 v[144:145], v[98:99], v[122:123]
	v_fma_f64 v[98:99], s[0:1], v[48:49], v[94:95]
	v_add_f64 v[156:157], v[88:89], v[128:129]
	v_fma_f64 v[88:89], s[20:21], v[48:49], v[50:51]
	v_add_f64 v[36:37], v[44:45], v[36:37]
	v_add_f64 v[44:45], v[100:101], v[102:103]
	v_mul_f64 v[94:95], v[54:55], s[28:29]
	v_add_f64 v[132:133], v[88:89], v[132:133]
	v_add_f64 v[50:51], v[100:101], -v[102:103]
	v_fma_f64 v[88:89], v[44:45], s[30:31], -v[94:95]
	v_add_f64 v[48:49], v[136:137], v[138:139]
	v_add_f64 v[88:89], v[88:89], v[38:39]
	v_mul_f64 v[38:39], v[50:51], s[28:29]
	v_fmac_f64_e32 v[94:95], s[30:31], v[44:45]
	v_add_f64 v[112:113], v[94:95], v[18:19]
	v_fma_f64 v[18:19], v[48:49], s[30:31], -v[38:39]
	v_add_f64 v[134:135], v[134:135], v[114:115]
	v_add_f64 v[114:115], v[18:19], v[46:47]
	v_mul_f64 v[18:19], v[54:55], s[10:11]
	v_add_f64 v[130:131], v[98:99], v[130:131]
	v_fma_f64 v[98:99], s[30:31], v[48:49], v[38:39]
	v_fma_f64 v[38:39], v[44:45], s[0:1], -v[18:19]
	v_add_f64 v[92:93], v[38:39], v[92:93]
	v_mul_f64 v[38:39], v[50:51], s[10:11]
	v_fmac_f64_e32 v[18:19], s[0:1], v[44:45]
	v_add_f64 v[116:117], v[18:19], v[104:105]
	v_fma_f64 v[18:19], v[48:49], s[0:1], -v[38:39]
	v_add_f64 v[118:119], v[18:19], v[106:107]
	v_mul_f64 v[18:19], v[54:55], s[22:23]
	v_fma_f64 v[46:47], s[0:1], v[48:49], v[38:39]
	v_fma_f64 v[38:39], v[44:45], s[24:25], -v[18:19]
	v_add_f64 v[94:95], v[46:47], v[96:97]
	v_add_f64 v[96:97], v[38:39], v[108:109]
	v_mul_f64 v[38:39], v[50:51], s[22:23]
	v_fmac_f64_e32 v[18:19], s[24:25], v[44:45]
	v_add_f64 v[120:121], v[18:19], v[140:141]
	v_fma_f64 v[18:19], v[48:49], s[24:25], -v[38:39]
	v_add_f64 v[122:123], v[18:19], v[110:111]
	v_mul_f64 v[18:19], v[54:55], s[36:37]
	v_fma_f64 v[46:47], s[24:25], v[48:49], v[38:39]
	v_fma_f64 v[38:39], v[44:45], s[16:17], -v[18:19]
	v_add_f64 v[100:101], v[38:39], v[142:143]
	v_mul_f64 v[38:39], v[50:51], s[36:37]
	v_fmac_f64_e32 v[18:19], s[16:17], v[44:45]
	v_add_f64 v[124:125], v[18:19], v[146:147]
	v_fma_f64 v[18:19], v[48:49], s[16:17], -v[38:39]
	v_add_f64 v[126:127], v[18:19], v[148:149]
	v_mul_f64 v[18:19], v[54:55], s[18:19]
	v_add_f64 v[90:91], v[98:99], v[90:91]
	v_add_f64 v[98:99], v[46:47], v[134:135]
	v_fma_f64 v[46:47], s[16:17], v[48:49], v[38:39]
	v_fma_f64 v[38:39], v[44:45], s[20:21], -v[18:19]
	v_add_f64 v[104:105], v[38:39], v[150:151]
	v_mul_f64 v[38:39], v[50:51], s[18:19]
	v_fmac_f64_e32 v[18:19], s[20:21], v[44:45]
	v_add_f64 v[102:103], v[46:47], v[144:145]
	v_fma_f64 v[46:47], s[20:21], v[48:49], v[38:39]
	v_add_f64 v[128:129], v[18:19], v[152:153]
	v_fma_f64 v[18:19], v[48:49], s[20:21], -v[38:39]
	v_add_f64 v[106:107], v[46:47], v[130:131]
	v_add_f64 v[130:131], v[18:19], v[154:155]
	v_mul_f64 v[18:19], v[54:55], s[34:35]
	v_fma_f64 v[38:39], v[44:45], s[14:15], -v[18:19]
	v_add_f64 v[108:109], v[38:39], v[156:157]
	v_mul_f64 v[38:39], v[50:51], s[34:35]
	v_fma_f64 v[46:47], s[14:15], v[48:49], v[38:39]
	v_fmac_f64_e32 v[18:19], s[14:15], v[44:45]
	v_accvgpr_write_b32 a2, v56
	v_accvgpr_write_b32 a6, v60
	;; [unrolled: 1-line block ×10, first 2 shown]
	v_add_f64 v[110:111], v[46:47], v[132:133]
	v_add_f64 v[132:133], v[18:19], v[16:17]
	v_fma_f64 v[16:17], v[48:49], s[14:15], -v[38:39]
	v_accvgpr_write_b32 a3, v57
	v_accvgpr_write_b32 a4, v58
	;; [unrolled: 1-line block ×30, first 2 shown]
	v_add_f64 v[134:135], v[16:17], v[36:37]
	s_and_saveexec_b64 s[0:1], s[2:3]
	s_cbranch_execz .LBB0_11
; %bb.10:
	ds_write_b128 v168, v[84:87]
	ds_write_b128 v168, v[88:91] offset:2080
	ds_write_b128 v168, v[92:95] offset:4160
	;; [unrolled: 1-line block ×12, first 2 shown]
.LBB0_11:
	s_or_b64 exec, exec, s[0:1]
	s_waitcnt lgkmcnt(0)
	s_barrier
	s_and_saveexec_b64 s[0:1], s[2:3]
	s_cbranch_execz .LBB0_13
; %bb.12:
	v_mov_b32_e32 v16, v169
	v_mov_b32_e32 v169, 0
	v_lshl_add_u64 v[160:161], s[12:13], 0, v[168:169]
	v_mov_b32_e32 v169, v16
	v_add_co_u32_e32 v16, vcc, 0x6000, v160
	s_movk_i32 s14, 0x7000
	s_nop 0
	v_addc_co_u32_e32 v17, vcc, 0, v161, vcc
	v_add_co_u32_e32 v18, vcc, s14, v160
	s_mov_b32 s14, 0x8000
	s_nop 0
	v_addc_co_u32_e32 v19, vcc, 0, v161, vcc
	v_add_co_u32_e32 v36, vcc, s14, v160
	s_mov_b32 s14, 0x9000
	s_nop 0
	v_addc_co_u32_e32 v37, vcc, 0, v161, vcc
	global_load_dwordx4 v[136:139], v[18:19], off offset:2528
	global_load_dwordx4 v[140:143], v[36:37], off offset:512
	;; [unrolled: 1-line block ×3, first 2 shown]
	v_add_co_u32_e32 v18, vcc, s14, v160
	s_mov_b64 s[10:11], 0x69a0
	s_nop 0
	v_addc_co_u32_e32 v19, vcc, 0, v161, vcc
	global_load_dwordx4 v[148:151], v[18:19], off offset:576
	global_load_dwordx4 v[152:155], v[16:17], off offset:2464
	v_lshl_add_u64 v[16:17], v[160:161], 0, s[10:11]
	global_load_dwordx4 v[156:159], v[16:17], off offset:2080
	s_mov_b32 s10, 0xa000
	v_add_co_u32_e32 v44, vcc, s10, v160
	s_mov_b32 s10, 0xb000
	s_nop 0
	v_addc_co_u32_e32 v45, vcc, 0, v161, vcc
	global_load_dwordx4 v[36:39], v[44:45], off offset:640
	v_add_co_u32_e32 v54, vcc, s10, v160
	global_load_dwordx4 v[16:19], v[18:19], off offset:2656
	s_nop 0
	v_addc_co_u32_e32 v55, vcc, 0, v161, vcc
	global_load_dwordx4 v[44:47], v[44:45], off offset:2720
	s_mov_b32 s10, 0xc000
	global_load_dwordx4 v[48:51], v[54:55], off offset:704
	global_load_dwordx4 v[162:165], v[54:55], off offset:2784
	v_add_co_u32_e32 v54, vcc, s10, v160
	s_nop 1
	v_addc_co_u32_e32 v55, vcc, 0, v161, vcc
	global_load_dwordx4 v[170:173], v[54:55], off offset:768
	global_load_dwordx4 v[174:177], v[54:55], off offset:2848
	ds_read_b128 v[178:181], v168 offset:4160
	ds_read_b128 v[182:185], v168
	ds_read_b128 v[186:189], v168 offset:2080
	ds_read_b128 v[190:193], v168 offset:6240
	;; [unrolled: 1-line block ×4, first 2 shown]
	s_waitcnt vmcnt(12) lgkmcnt(5)
	v_mul_f64 v[54:55], v[180:181], v[138:139]
	v_mul_f64 v[160:161], v[178:179], v[138:139]
	s_waitcnt vmcnt(11) lgkmcnt(2)
	v_mul_f64 v[166:167], v[192:193], v[142:143]
	v_mul_f64 v[138:139], v[190:191], v[142:143]
	;; [unrolled: 3-line block ×3, first 2 shown]
	v_fmac_f64_e32 v[160:161], v[180:181], v[136:137]
	v_fmac_f64_e32 v[138:139], v[192:193], v[140:141]
	s_waitcnt vmcnt(8)
	v_mul_f64 v[206:207], v[184:185], v[154:155]
	v_mul_f64 v[146:147], v[182:183], v[154:155]
	s_waitcnt vmcnt(7)
	v_mul_f64 v[208:209], v[188:189], v[158:159]
	v_mul_f64 v[154:155], v[186:187], v[158:159]
	v_fma_f64 v[158:159], v[178:179], v[136:137], -v[54:55]
	v_fma_f64 v[136:137], v[190:191], v[140:141], -v[166:167]
	;; [unrolled: 1-line block ×3, first 2 shown]
	v_fmac_f64_e32 v[142:143], v[196:197], v[144:145]
	v_fma_f64 v[144:145], v[182:183], v[152:153], -v[206:207]
	v_fmac_f64_e32 v[146:147], v[184:185], v[152:153]
	v_fma_f64 v[152:153], v[186:187], v[156:157], -v[208:209]
	v_fmac_f64_e32 v[154:155], v[188:189], v[156:157]
	ds_write_b128 v168, v[158:161] offset:4160
	ds_write_b128 v168, v[136:139] offset:6240
	;; [unrolled: 1-line block ×3, first 2 shown]
	ds_write_b128 v168, v[144:147]
	ds_write_b128 v168, v[152:155] offset:2080
	ds_read_b128 v[136:139], v168 offset:12480
	ds_read_b128 v[140:143], v168 offset:14560
	s_waitcnt lgkmcnt(7)
	v_mul_f64 v[204:205], v[200:201], v[150:151]
	v_mul_f64 v[180:181], v[198:199], v[150:151]
	v_fma_f64 v[178:179], v[198:199], v[148:149], -v[204:205]
	s_waitcnt vmcnt(5) lgkmcnt(1)
	v_mul_f64 v[54:55], v[138:139], v[18:19]
	v_mul_f64 v[146:147], v[136:137], v[18:19]
	v_fma_f64 v[144:145], v[136:137], v[16:17], -v[54:55]
	v_fmac_f64_e32 v[146:147], v[138:139], v[16:17]
	ds_read_b128 v[136:139], v168 offset:16640
	s_waitcnt lgkmcnt(1)
	v_mul_f64 v[16:17], v[142:143], v[38:39]
	v_mul_f64 v[18:19], v[140:141], v[38:39]
	v_fma_f64 v[16:17], v[140:141], v[36:37], -v[16:17]
	v_fmac_f64_e32 v[18:19], v[142:143], v[36:37]
	ds_write_b128 v168, v[16:19] offset:14560
	ds_read_b128 v[16:19], v168 offset:18720
	s_waitcnt vmcnt(4) lgkmcnt(2)
	v_mul_f64 v[36:37], v[138:139], v[46:47]
	v_mul_f64 v[38:39], v[136:137], v[46:47]
	v_fma_f64 v[36:37], v[136:137], v[44:45], -v[36:37]
	v_fmac_f64_e32 v[38:39], v[138:139], v[44:45]
	ds_read_b128 v[44:47], v168 offset:20800
	ds_write_b128 v168, v[36:39] offset:16640
	s_waitcnt vmcnt(3) lgkmcnt(2)
	v_mul_f64 v[36:37], v[18:19], v[50:51]
	v_mul_f64 v[38:39], v[16:17], v[50:51]
	v_fma_f64 v[36:37], v[16:17], v[48:49], -v[36:37]
	v_fmac_f64_e32 v[38:39], v[18:19], v[48:49]
	ds_read_b128 v[16:19], v168 offset:22880
	ds_write_b128 v168, v[36:39] offset:18720
	s_waitcnt vmcnt(2) lgkmcnt(3)
	v_mul_f64 v[36:37], v[46:47], v[164:165]
	v_mul_f64 v[38:39], v[44:45], v[164:165]
	v_fma_f64 v[36:37], v[44:45], v[162:163], -v[36:37]
	v_fmac_f64_e32 v[38:39], v[46:47], v[162:163]
	ds_write_b128 v168, v[36:39] offset:20800
	ds_read_b128 v[36:39], v168 offset:24960
	s_waitcnt vmcnt(1) lgkmcnt(3)
	v_mul_f64 v[44:45], v[18:19], v[172:173]
	v_mul_f64 v[46:47], v[16:17], v[172:173]
	v_fma_f64 v[44:45], v[16:17], v[170:171], -v[44:45]
	v_fmac_f64_e32 v[46:47], v[18:19], v[170:171]
	s_waitcnt vmcnt(0) lgkmcnt(0)
	v_mul_f64 v[16:17], v[38:39], v[176:177]
	v_mul_f64 v[18:19], v[36:37], v[176:177]
	v_fmac_f64_e32 v[180:181], v[200:201], v[148:149]
	v_fma_f64 v[16:17], v[36:37], v[174:175], -v[16:17]
	v_fmac_f64_e32 v[18:19], v[38:39], v[174:175]
	ds_write_b128 v168, v[178:181] offset:10400
	ds_write_b128 v168, v[144:147] offset:12480
	;; [unrolled: 1-line block ×4, first 2 shown]
.LBB0_13:
	s_or_b64 exec, exec, s[0:1]
	s_waitcnt lgkmcnt(0)
	s_barrier
	s_and_saveexec_b64 s[0:1], s[2:3]
	s_cbranch_execz .LBB0_15
; %bb.14:
	ds_read_b128 v[84:87], v168
	ds_read_b128 v[88:91], v168 offset:2080
	ds_read_b128 v[92:95], v168 offset:4160
	;; [unrolled: 1-line block ×12, first 2 shown]
.LBB0_15:
	s_or_b64 exec, exec, s[0:1]
	s_mov_b32 s44, 0x4267c47c
	s_waitcnt lgkmcnt(0)
	v_add_f64 v[164:165], v[90:91], -v[114:115]
	s_mov_b32 s10, 0xe00740e9
	s_mov_b32 s45, 0xbfddbe06
	;; [unrolled: 1-line block ×3, first 2 shown]
	v_add_f64 v[184:185], v[88:89], v[112:113]
	v_add_f64 v[202:203], v[90:91], v[114:115]
	s_mov_b32 s11, 0x3fec55a7
	v_mul_f64 v[78:79], v[164:165], s[44:45]
	s_mov_b32 s14, 0x1ea71119
	s_mov_b32 s17, 0xbfea55e2
	v_add_f64 v[250:251], v[94:95], -v[118:119]
	v_add_f64 v[166:167], v[88:89], -v[112:113]
	v_mul_f64 v[56:57], v[202:203], s[10:11]
	v_fma_f64 v[16:17], v[184:185], s[10:11], -v[78:79]
	s_mov_b32 s15, 0x3fe22d96
	v_add_f64 v[206:207], v[92:93], v[116:117]
	v_add_f64 v[228:229], v[94:95], v[118:119]
	v_mul_f64 v[58:59], v[250:251], s[16:17]
	s_mov_b32 s26, 0x2ef20147
	v_add_f64 v[16:17], v[84:85], v[16:17]
	v_fma_f64 v[18:19], s[44:45], v[166:167], v[56:57]
	v_mul_f64 v[60:61], v[164:165], s[16:17]
	s_mov_b32 s24, 0x66966769
	v_add_f64 v[252:253], v[92:93], -v[116:117]
	v_mul_f64 v[62:63], v[228:229], s[14:15]
	v_fma_f64 v[48:49], v[206:207], s[14:15], -v[58:59]
	s_mov_b32 s27, 0xbfedeba7
	v_add_f64 v[18:19], v[86:87], v[18:19]
	v_mul_f64 v[64:65], v[202:203], s[14:15]
	v_fma_f64 v[36:37], v[184:185], s[14:15], -v[60:61]
	s_mov_b32 s18, 0xebaa3ed8
	s_mov_b32 s25, 0xbfefc445
	v_add_f64 v[16:17], v[48:49], v[16:17]
	v_fma_f64 v[48:49], s[16:17], v[252:253], v[62:63]
	v_mul_f64 v[188:189], v[250:251], s[26:27]
	v_add_f64 v[36:37], v[84:85], v[36:37]
	v_fma_f64 v[38:39], s[16:17], v[166:167], v[64:65]
	s_mov_b32 s19, 0x3fbedb7d
	v_mul_f64 v[190:191], v[164:165], s[24:25]
	v_add_f64 v[18:19], v[48:49], v[18:19]
	v_mul_f64 v[194:195], v[228:229], s[20:21]
	v_fma_f64 v[48:49], v[206:207], s[20:21], -v[188:189]
	s_mov_b32 s22, 0x93053d00
	s_mov_b32 s39, 0xbfcea1e5
	;; [unrolled: 1-line block ×3, first 2 shown]
	v_add_f64 v[38:39], v[86:87], v[38:39]
	v_mul_f64 v[196:197], v[202:203], s[18:19]
	v_fma_f64 v[44:45], v[184:185], s[18:19], -v[190:191]
	v_add_f64 v[36:37], v[48:49], v[36:37]
	v_fma_f64 v[48:49], s[26:27], v[252:253], v[194:195]
	s_mov_b32 s23, 0xbfef11f4
	v_mul_f64 v[208:209], v[250:251], s[38:39]
	v_add_f64 v[44:45], v[84:85], v[44:45]
	v_fma_f64 v[46:47], s[24:25], v[166:167], v[196:197]
	v_add_f64 v[38:39], v[48:49], v[38:39]
	v_mul_f64 v[212:213], v[228:229], s[22:23]
	v_fma_f64 v[48:49], v[206:207], s[22:23], -v[208:209]
	v_add_f64 v[46:47], v[86:87], v[46:47]
	v_add_f64 v[48:49], v[48:49], v[44:45]
	v_fma_f64 v[44:45], s[38:39], v[252:253], v[212:213]
	v_add_f64 v[46:47], v[44:45], v[46:47]
	v_add_f64 v[44:45], v[98:99], -v[122:123]
	v_add_f64 v[226:227], v[96:97], v[120:121]
	v_add_f64 v[254:255], v[98:99], v[122:123]
	v_mul_f64 v[186:187], v[44:45], s[24:25]
	v_add_f64 v[242:243], v[96:97], -v[120:121]
	v_mul_f64 v[192:193], v[254:255], s[18:19]
	v_fma_f64 v[50:51], v[226:227], s[18:19], -v[186:187]
	v_add_f64 v[16:17], v[50:51], v[16:17]
	v_fma_f64 v[50:51], s[24:25], v[242:243], v[192:193]
	v_mul_f64 v[200:201], v[44:45], s[38:39]
	v_add_f64 v[50:51], v[50:51], v[18:19]
	v_mul_f64 v[210:211], v[254:255], s[22:23]
	v_fma_f64 v[18:19], v[226:227], s[22:23], -v[200:201]
	s_mov_b32 s37, 0x3fedeba7
	s_mov_b32 s36, s26
	v_add_f64 v[36:37], v[18:19], v[36:37]
	v_fma_f64 v[18:19], s[38:39], v[242:243], v[210:211]
	v_mul_f64 v[218:219], v[44:45], s[36:37]
	v_add_f64 v[38:39], v[18:19], v[38:39]
	v_mul_f64 v[224:225], v[254:255], s[20:21]
	v_fma_f64 v[18:19], v[226:227], s[20:21], -v[218:219]
	v_add_f64 v[48:49], v[18:19], v[48:49]
	v_fma_f64 v[18:19], s[36:37], v[242:243], v[224:225]
	v_add_f64 v[180:181], v[102:103], -v[126:127]
	v_add_f64 v[46:47], v[18:19], v[46:47]
	v_add_f64 v[246:247], v[100:101], v[124:125]
	;; [unrolled: 1-line block ×3, first 2 shown]
	v_mul_f64 v[198:199], v[180:181], s[26:27]
	s_mov_b32 s40, 0x24c2f84
	v_add_f64 v[172:173], v[100:101], -v[124:125]
	v_mul_f64 v[204:205], v[18:19], s[20:21]
	v_fma_f64 v[54:55], v[246:247], s[20:21], -v[198:199]
	s_mov_b32 s28, 0xd0032e0c
	s_mov_b32 s41, 0x3fe5384d
	v_add_f64 v[16:17], v[54:55], v[16:17]
	v_fma_f64 v[54:55], s[26:27], v[172:173], v[204:205]
	s_mov_b32 s29, 0xbfe7f3cc
	v_mul_f64 v[216:217], v[180:181], s[40:41]
	v_add_f64 v[54:55], v[54:55], v[50:51]
	v_mul_f64 v[222:223], v[18:19], s[28:29]
	v_fma_f64 v[50:51], v[246:247], s[28:29], -v[216:217]
	s_mov_b32 s31, 0x3fddbe06
	s_mov_b32 s30, s44
	v_add_f64 v[36:37], v[50:51], v[36:37]
	v_fma_f64 v[50:51], s[40:41], v[172:173], v[222:223]
	v_mul_f64 v[236:237], v[180:181], s[30:31]
	v_add_f64 v[38:39], v[50:51], v[38:39]
	v_mul_f64 v[244:245], v[18:19], s[10:11]
	v_fma_f64 v[50:51], v[246:247], s[10:11], -v[236:237]
	v_add_f64 v[48:49], v[50:51], v[48:49]
	v_fma_f64 v[50:51], s[30:31], v[172:173], v[244:245]
	v_add_f64 v[46:47], v[50:51], v[46:47]
	v_add_f64 v[50:51], v[106:107], -v[130:131]
	s_mov_b32 s35, 0xbfe5384d
	s_mov_b32 s34, s40
	v_add_f64 v[176:177], v[104:105], v[128:129]
	v_add_f64 v[182:183], v[106:107], v[130:131]
	v_mul_f64 v[214:215], v[50:51], s[34:35]
	v_add_f64 v[178:179], v[104:105], -v[128:129]
	v_mul_f64 v[220:221], v[182:183], s[28:29]
	v_fma_f64 v[136:137], v[176:177], s[28:29], -v[214:215]
	s_mov_b32 s42, s24
	v_add_f64 v[16:17], v[136:137], v[16:17]
	v_fma_f64 v[136:137], s[34:35], v[178:179], v[220:221]
	v_mul_f64 v[232:233], v[50:51], s[42:43]
	v_add_f64 v[54:55], v[136:137], v[54:55]
	v_mul_f64 v[240:241], v[182:183], s[18:19]
	v_fma_f64 v[136:137], v[176:177], s[18:19], -v[232:233]
	v_add_f64 v[140:141], v[136:137], v[36:37]
	v_fma_f64 v[36:37], s[42:43], v[178:179], v[240:241]
	v_mul_f64 v[170:171], v[50:51], s[16:17]
	v_add_f64 v[142:143], v[36:37], v[38:39]
	v_mul_f64 v[174:175], v[182:183], s[14:15]
	v_fma_f64 v[36:37], v[176:177], s[14:15], -v[170:171]
	v_add_f64 v[144:145], v[36:37], v[48:49]
	v_fma_f64 v[36:37], s[16:17], v[178:179], v[174:175]
	v_add_f64 v[148:149], v[110:111], -v[134:135]
	v_add_f64 v[146:147], v[36:37], v[46:47]
	v_add_f64 v[36:37], v[108:109], v[132:133]
	v_add_f64 v[48:49], v[110:111], v[134:135]
	v_mul_f64 v[230:231], v[148:149], s[38:39]
	v_add_f64 v[38:39], v[108:109], -v[132:133]
	v_mul_f64 v[234:235], v[48:49], s[22:23]
	v_fma_f64 v[46:47], v[36:37], s[22:23], -v[230:231]
	v_add_f64 v[136:137], v[46:47], v[16:17]
	v_fma_f64 v[16:17], s[38:39], v[38:39], v[234:235]
	v_mul_f64 v[248:249], v[148:149], s[30:31]
	v_add_f64 v[138:139], v[16:17], v[54:55]
	v_mul_f64 v[238:239], v[48:49], s[10:11]
	v_fma_f64 v[16:17], v[36:37], s[10:11], -v[248:249]
	v_add_f64 v[140:141], v[16:17], v[140:141]
	v_fma_f64 v[16:17], s[30:31], v[38:39], v[238:239]
	v_add_f64 v[142:143], v[16:17], v[142:143]
	v_mul_f64 v[16:17], v[148:149], s[34:35]
	v_mul_f64 v[46:47], v[48:49], s[28:29]
	v_fma_f64 v[54:55], v[36:37], s[28:29], -v[16:17]
	v_add_f64 v[144:145], v[54:55], v[144:145]
	v_fma_f64 v[54:55], s[34:35], v[38:39], v[46:47]
	v_add_f64 v[146:147], v[54:55], v[146:147]
	s_barrier
	s_and_saveexec_b64 s[0:1], s[2:3]
	s_cbranch_execz .LBB0_17
; %bb.16:
	v_mul_f64 v[54:55], v[184:185], s[10:11]
	v_accvgpr_write_b32 a50, v54
	v_accvgpr_write_b32 a51, v55
	v_mul_f64 v[54:55], v[166:167], s[44:45]
	v_accvgpr_write_b32 a54, v54
	v_accvgpr_write_b32 a55, v55
	;; [unrolled: 3-line block ×8, first 2 shown]
	v_accvgpr_write_b32 a69, v57
	v_accvgpr_write_b32 a74, v60
	v_mul_f64 v[60:61], v[166:167], s[38:39]
	v_accvgpr_write_b32 a71, v63
	v_accvgpr_write_b32 a76, v54
	v_mul_f64 v[54:55], v[242:243], s[38:39]
	v_accvgpr_write_b32 a68, v56
	v_mul_f64 v[56:57], v[252:253], s[30:31]
	v_accvgpr_write_b32 a61, v59
	v_accvgpr_write_b32 a70, v62
	v_fma_f64 v[62:63], s[22:23], v[202:203], v[60:61]
	v_accvgpr_write_b32 a65, v55
	s_mov_b32 s45, 0x3fea55e2
	s_mov_b32 s44, s16
	v_mul_f64 v[160:161], v[242:243], s[34:35]
	v_accvgpr_write_b32 a60, v58
	v_fma_f64 v[58:59], s[10:11], v[228:229], v[56:57]
	v_add_f64 v[62:63], v[86:87], v[62:63]
	v_accvgpr_write_b32 a64, v54
	v_mul_f64 v[54:55], v[38:39], s[38:39]
	v_mul_f64 v[156:157], v[172:173], s[44:45]
	v_fma_f64 v[162:163], s[28:29], v[254:255], v[160:161]
	v_add_f64 v[58:59], v[58:59], v[62:63]
	v_accvgpr_write_b32 a10, v68
	v_mul_f64 v[72:73], v[164:165], s[38:39]
	v_accvgpr_write_b32 a63, v55
	v_mul_f64 v[152:153], v[178:179], s[26:27]
	v_fma_f64 v[158:159], s[14:15], v[18:19], v[156:157]
	v_add_f64 v[58:59], v[162:163], v[58:59]
	v_accvgpr_write_b32 a79, v65
	v_accvgpr_write_b32 a11, v69
	;; [unrolled: 1-line block ×4, first 2 shown]
	v_mul_f64 v[68:69], v[250:251], s[30:31]
	v_fma_f64 v[74:75], v[184:185], s[22:23], -v[72:73]
	v_accvgpr_write_b32 a62, v54
	v_mul_f64 v[54:55], v[38:39], s[42:43]
	v_fma_f64 v[154:155], s[20:21], v[182:183], v[152:153]
	v_add_f64 v[58:59], v[158:159], v[58:59]
	v_accvgpr_write_b32 a78, v64
	v_mul_f64 v[64:65], v[44:45], s[34:35]
	v_fma_f64 v[70:71], v[206:207], s[10:11], -v[68:69]
	v_add_f64 v[74:75], v[84:85], v[74:75]
	v_fma_f64 v[150:151], s[18:19], v[48:49], v[54:55]
	v_add_f64 v[58:59], v[154:155], v[58:59]
	v_mul_f64 v[158:159], v[180:181], s[44:45]
	v_fma_f64 v[66:67], v[226:227], s[28:29], -v[64:65]
	v_add_f64 v[70:71], v[70:71], v[74:75]
	v_add_f64 v[76:77], v[150:151], v[58:59]
	v_mul_f64 v[150:151], v[50:51], s[26:27]
	v_fma_f64 v[162:163], v[246:247], s[14:15], -v[158:159]
	v_add_f64 v[66:67], v[66:67], v[70:71]
	v_fma_f64 v[60:61], v[202:203], s[22:23], -v[60:61]
	v_mul_f64 v[58:59], v[148:149], s[42:43]
	v_fma_f64 v[154:155], v[176:177], s[20:21], -v[150:151]
	v_add_f64 v[66:67], v[162:163], v[66:67]
	v_fma_f64 v[56:57], v[228:229], s[10:11], -v[56:57]
	v_add_f64 v[60:61], v[86:87], v[60:61]
	;; [unrolled: 2-line block ×4, first 2 shown]
	v_add_f64 v[74:75], v[62:63], v[66:67]
	v_fma_f64 v[66:67], v[18:19], s[14:15], -v[156:157]
	v_add_f64 v[56:57], v[70:71], v[56:57]
	v_fma_f64 v[62:63], v[182:183], s[20:21], -v[152:153]
	;; [unrolled: 2-line block ×3, first 2 shown]
	v_add_f64 v[56:57], v[62:63], v[56:57]
	v_fmac_f64_e32 v[72:73], s[22:23], v[184:185]
	v_add_f64 v[154:155], v[54:55], v[56:57]
	v_fmac_f64_e32 v[68:69], s[10:11], v[206:207]
	v_add_f64 v[54:55], v[84:85], v[72:73]
	v_fmac_f64_e32 v[64:65], s[28:29], v[226:227]
	v_add_f64 v[54:55], v[68:69], v[54:55]
	v_accvgpr_write_b32 a46, v74
	v_fmac_f64_e32 v[158:159], s[14:15], v[246:247]
	v_add_f64 v[54:55], v[64:65], v[54:55]
	v_accvgpr_write_b32 a47, v75
	v_accvgpr_write_b32 a48, v76
	;; [unrolled: 1-line block ×3, first 2 shown]
	v_fmac_f64_e32 v[150:151], s[20:21], v[176:177]
	v_add_f64 v[54:55], v[158:159], v[54:55]
	v_mul_f64 v[74:75], v[166:167], s[34:35]
	v_add_f64 v[54:55], v[150:151], v[54:55]
	v_mul_f64 v[70:71], v[252:253], s[42:43]
	v_fma_f64 v[150:151], s[28:29], v[202:203], v[74:75]
	v_fma_f64 v[74:75], v[202:203], s[28:29], -v[74:75]
	s_mov_b32 s39, 0x3fcea1e5
	v_mul_f64 v[66:67], v[242:243], s[16:17]
	v_fma_f64 v[72:73], s[18:19], v[228:229], v[70:71]
	v_fma_f64 v[70:71], v[228:229], s[18:19], -v[70:71]
	v_add_f64 v[74:75], v[86:87], v[74:75]
	v_fmac_f64_e32 v[58:59], s[18:19], v[36:37]
	v_mul_f64 v[62:63], v[172:173], s[38:39]
	v_fma_f64 v[68:69], s[14:15], v[254:255], v[66:67]
	v_add_f64 v[70:71], v[70:71], v[74:75]
	v_fma_f64 v[66:67], v[254:255], s[14:15], -v[66:67]
	v_add_f64 v[152:153], v[58:59], v[54:55]
	v_mul_f64 v[58:59], v[178:179], s[30:31]
	v_fma_f64 v[64:65], s[22:23], v[18:19], v[62:63]
	v_add_f64 v[150:151], v[86:87], v[150:151]
	v_add_f64 v[66:67], v[66:67], v[70:71]
	v_fma_f64 v[62:63], v[18:19], s[22:23], -v[62:63]
	v_mul_f64 v[54:55], v[38:39], s[26:27]
	v_fma_f64 v[60:61], s[10:11], v[182:183], v[58:59]
	v_add_f64 v[72:73], v[72:73], v[150:151]
	v_mul_f64 v[160:161], v[164:165], s[34:35]
	v_fma_f64 v[58:59], v[182:183], s[10:11], -v[58:59]
	v_add_f64 v[62:63], v[62:63], v[66:67]
	v_fma_f64 v[56:57], s[20:21], v[48:49], v[54:55]
	v_add_f64 v[68:69], v[68:69], v[72:73]
	v_mul_f64 v[72:73], v[250:251], s[42:43]
	v_fma_f64 v[156:157], v[184:185], s[28:29], -v[160:161]
	v_fma_f64 v[54:55], v[48:49], s[20:21], -v[54:55]
	v_add_f64 v[58:59], v[58:59], v[62:63]
	v_fmac_f64_e32 v[160:161], s[28:29], v[184:185]
	v_add_f64 v[64:65], v[64:65], v[68:69]
	v_mul_f64 v[68:69], v[44:45], s[16:17]
	v_fma_f64 v[150:151], v[206:207], s[18:19], -v[72:73]
	v_add_f64 v[156:157], v[84:85], v[156:157]
	v_add_f64 v[162:163], v[54:55], v[58:59]
	v_fmac_f64_e32 v[72:73], s[18:19], v[206:207]
	v_add_f64 v[54:55], v[84:85], v[160:161]
	v_add_f64 v[60:61], v[60:61], v[64:65]
	v_mul_f64 v[64:65], v[180:181], s[38:39]
	v_add_f64 v[150:151], v[150:151], v[156:157]
	v_fma_f64 v[156:157], v[226:227], s[14:15], -v[68:69]
	v_fmac_f64_e32 v[68:69], s[14:15], v[226:227]
	v_add_f64 v[54:55], v[72:73], v[54:55]
	v_mul_f64 v[72:73], v[166:167], s[26:27]
	v_add_f64 v[150:151], v[156:157], v[150:151]
	v_fma_f64 v[156:157], v[246:247], s[22:23], -v[64:65]
	v_fmac_f64_e32 v[64:65], s[22:23], v[246:247]
	v_add_f64 v[54:55], v[68:69], v[54:55]
	v_mul_f64 v[66:67], v[252:253], s[40:41]
	v_fma_f64 v[166:167], s[20:21], v[202:203], v[72:73]
	v_add_f64 v[158:159], v[56:57], v[60:61]
	v_mul_f64 v[60:61], v[50:51], s[30:31]
	v_add_f64 v[54:55], v[64:65], v[54:55]
	v_mul_f64 v[64:65], v[242:243], s[30:31]
	v_fma_f64 v[68:69], s[28:29], v[228:229], v[66:67]
	v_add_f64 v[166:167], v[86:87], v[166:167]
	v_mul_f64 v[56:57], v[148:149], s[26:27]
	v_add_f64 v[150:151], v[156:157], v[150:151]
	v_fma_f64 v[156:157], v[176:177], s[10:11], -v[60:61]
	v_fmac_f64_e32 v[60:61], s[10:11], v[176:177]
	v_mul_f64 v[62:63], v[172:173], s[24:25]
	v_add_f64 v[68:69], v[68:69], v[166:167]
	v_fma_f64 v[166:167], s[10:11], v[254:255], v[64:65]
	v_fma_f64 v[72:73], v[202:203], s[20:21], -v[72:73]
	v_add_f64 v[150:151], v[156:157], v[150:151]
	v_fma_f64 v[156:157], v[36:37], s[20:21], -v[56:57]
	v_fmac_f64_e32 v[56:57], s[20:21], v[36:37]
	v_add_f64 v[54:55], v[60:61], v[54:55]
	v_mul_f64 v[58:59], v[178:179], s[38:39]
	v_add_f64 v[68:69], v[166:167], v[68:69]
	v_fma_f64 v[166:167], s[18:19], v[18:19], v[62:63]
	v_fma_f64 v[66:67], v[228:229], s[28:29], -v[66:67]
	v_add_f64 v[72:73], v[86:87], v[72:73]
	v_add_f64 v[160:161], v[56:57], v[54:55]
	v_mul_f64 v[54:55], v[38:39], s[44:45]
	v_fma_f64 v[60:61], s[22:23], v[182:183], v[58:59]
	v_add_f64 v[68:69], v[166:167], v[68:69]
	v_fma_f64 v[64:65], v[254:255], s[10:11], -v[64:65]
	v_add_f64 v[66:67], v[66:67], v[72:73]
	v_fma_f64 v[56:57], s[14:15], v[48:49], v[54:55]
	v_add_f64 v[60:61], v[60:61], v[68:69]
	v_fma_f64 v[18:19], v[18:19], s[18:19], -v[62:63]
	v_add_f64 v[64:65], v[64:65], v[66:67]
	v_mul_f64 v[76:77], v[252:253], s[16:17]
	v_add_f64 v[166:167], v[56:57], v[60:61]
	v_mul_f64 v[60:61], v[180:181], s[24:25]
	v_mul_f64 v[180:181], v[164:165], s[26:27]
	v_fma_f64 v[58:59], v[182:183], s[22:23], -v[58:59]
	v_add_f64 v[18:19], v[18:19], v[64:65]
	v_accvgpr_write_b32 a81, v77
	v_mul_f64 v[68:69], v[250:251], s[40:41]
	v_fma_f64 v[164:165], v[184:185], s[20:21], -v[180:181]
	v_fma_f64 v[48:49], v[48:49], s[14:15], -v[54:55]
	v_add_f64 v[18:19], v[58:59], v[18:19]
	v_fmac_f64_e32 v[180:181], s[20:21], v[184:185]
	v_accvgpr_write_b32 a80, v76
	v_mul_f64 v[56:57], v[148:149], s[44:45]
	v_mul_f64 v[44:45], v[44:45], s[30:31]
	v_fma_f64 v[148:149], v[206:207], s[28:29], -v[68:69]
	v_add_f64 v[164:165], v[84:85], v[164:165]
	v_fmac_f64_e32 v[68:69], s[28:29], v[206:207]
	v_mul_f64 v[184:185], v[38:39], s[30:31]
	v_mul_f64 v[76:77], v[38:39], s[34:35]
	v_add_f64 v[38:39], v[48:49], v[18:19]
	v_add_f64 v[18:19], v[84:85], v[180:181]
	;; [unrolled: 1-line block ×3, first 2 shown]
	v_fma_f64 v[164:165], v[226:227], s[10:11], -v[44:45]
	v_fmac_f64_e32 v[44:45], s[10:11], v[226:227]
	v_add_f64 v[18:19], v[68:69], v[18:19]
	v_mul_f64 v[50:51], v[50:51], s[38:39]
	v_add_f64 v[148:149], v[164:165], v[148:149]
	v_fma_f64 v[164:165], v[246:247], s[18:19], -v[60:61]
	v_fmac_f64_e32 v[60:61], s[18:19], v[246:247]
	v_add_f64 v[18:19], v[44:45], v[18:19]
	v_add_f64 v[148:149], v[164:165], v[148:149]
	v_fma_f64 v[164:165], v[176:177], s[22:23], -v[50:51]
	v_fmac_f64_e32 v[50:51], s[22:23], v[176:177]
	v_add_f64 v[18:19], v[60:61], v[18:19]
	;; [unrolled: 4-line block ×3, first 2 shown]
	v_add_f64 v[156:157], v[156:157], v[150:151]
	v_mul_f64 v[150:151], v[206:207], s[20:21]
	v_mul_f64 v[70:71], v[206:207], s[22:23]
	v_add_f64 v[164:165], v[164:165], v[148:149]
	v_mul_f64 v[148:149], v[226:227], s[18:19]
	v_mul_f64 v[54:55], v[226:227], s[22:23]
	;; [unrolled: 1-line block ×6, first 2 shown]
	v_add_f64 v[36:37], v[56:57], v[18:19]
	v_accvgpr_read_b32 v56, a72
	v_accvgpr_read_b32 v50, a76
	;; [unrolled: 1-line block ×4, first 2 shown]
	v_add_f64 v[56:57], v[196:197], -v[56:57]
	v_mul_f64 v[250:251], v[242:243], s[24:25]
	v_mul_f64 v[242:243], v[242:243], s[36:37]
	v_add_f64 v[50:51], v[212:213], -v[50:51]
	v_add_f64 v[56:57], v[86:87], v[56:57]
	v_mul_f64 v[74:75], v[252:253], s[26:27]
	v_mul_f64 v[252:253], v[172:173], s[26:27]
	;; [unrolled: 1-line block ×4, first 2 shown]
	v_add_f64 v[48:49], v[224:225], -v[242:243]
	v_add_f64 v[50:51], v[50:51], v[56:57]
	v_accvgpr_read_b32 v56, a66
	v_mul_f64 v[62:63], v[246:247], s[20:21]
	v_mul_f64 v[228:229], v[246:247], s[28:29]
	;; [unrolled: 1-line block ×6, first 2 shown]
	v_add_f64 v[18:19], v[46:47], -v[76:77]
	v_add_f64 v[46:47], v[244:245], -v[172:173]
	v_add_f64 v[48:49], v[48:49], v[50:51]
	v_accvgpr_read_b32 v57, a67
	v_add_f64 v[44:45], v[174:175], -v[178:179]
	v_add_f64 v[46:47], v[46:47], v[48:49]
	v_add_f64 v[56:57], v[56:57], v[190:191]
	;; [unrolled: 1-line block ×6, first 2 shown]
	v_accvgpr_read_b32 v61, a59
	v_accvgpr_read_b32 v72, a78
	v_add_f64 v[48:49], v[182:183], v[218:219]
	v_add_f64 v[50:51], v[50:51], v[56:57]
	v_accvgpr_read_b32 v60, a58
	v_accvgpr_read_b32 v73, a79
	v_add_f64 v[48:49], v[48:49], v[50:51]
	v_accvgpr_read_b32 v50, a64
	v_add_f64 v[60:61], v[72:73], -v[60:61]
	v_accvgpr_read_b32 v51, a65
	v_add_f64 v[56:57], v[194:195], -v[74:75]
	v_add_f64 v[60:61], v[86:87], v[60:61]
	v_mul_f64 v[66:67], v[176:177], s[28:29]
	v_mul_f64 v[58:59], v[176:177], s[18:19]
	;; [unrolled: 1-line block ×3, first 2 shown]
	v_add_f64 v[50:51], v[210:211], -v[50:51]
	v_add_f64 v[56:57], v[56:57], v[60:61]
	v_add_f64 v[18:19], v[18:19], v[44:45]
	v_add_f64 v[44:45], v[176:177], v[170:171]
	v_add_f64 v[46:47], v[46:47], v[48:49]
	v_add_f64 v[48:49], v[222:223], -v[202:203]
	v_add_f64 v[50:51], v[50:51], v[56:57]
	v_add_f64 v[44:45], v[44:45], v[46:47]
	v_add_f64 v[46:47], v[240:241], -v[246:247]
	v_add_f64 v[48:49], v[48:49], v[50:51]
	v_add_f64 v[46:47], v[46:47], v[48:49]
	;; [unrolled: 1-line block ×3, first 2 shown]
	v_accvgpr_read_b32 v59, a57
	v_accvgpr_read_b32 v60, a74
	;; [unrolled: 1-line block ×4, first 2 shown]
	v_add_f64 v[58:59], v[58:59], v[60:61]
	v_add_f64 v[56:57], v[150:151], v[188:189]
	;; [unrolled: 1-line block ×7, first 2 shown]
	v_accvgpr_read_b32 v58, a70
	v_accvgpr_read_b32 v60, a80
	v_add_f64 v[50:51], v[50:51], v[54:55]
	v_accvgpr_read_b32 v59, a71
	v_accvgpr_read_b32 v61, a81
	v_add_f64 v[48:49], v[48:49], v[50:51]
	v_add_f64 v[50:51], v[220:221], -v[64:65]
	v_add_f64 v[58:59], v[58:59], -v[60:61]
	v_accvgpr_read_b32 v61, a55
	v_accvgpr_read_b32 v64, a68
	;; [unrolled: 1-line block ×4, first 2 shown]
	v_add_f64 v[60:61], v[64:65], -v[60:61]
	v_add_f64 v[60:61], v[86:87], v[60:61]
	v_add_f64 v[56:57], v[192:193], -v[250:251]
	v_add_f64 v[58:59], v[58:59], v[60:61]
	;; [unrolled: 2-line block ×3, first 2 shown]
	v_add_f64 v[54:55], v[54:55], v[56:57]
	v_add_f64 v[56:57], v[62:63], v[198:199]
	v_accvgpr_read_b32 v61, a53
	v_accvgpr_read_b32 v63, a61
	;; [unrolled: 1-line block ×4, first 2 shown]
	v_add_f64 v[60:61], v[60:61], v[62:63]
	v_accvgpr_read_b32 v63, a51
	v_add_f64 v[16:17], v[254:255], v[16:17]
	v_accvgpr_read_b32 v62, a50
	v_add_f64 v[16:17], v[16:17], v[44:45]
	v_add_f64 v[44:45], v[238:239], -v[184:185]
	v_add_f64 v[62:63], v[62:63], v[78:79]
	v_add_f64 v[46:47], v[44:45], v[46:47]
	;; [unrolled: 1-line block ×5, first 2 shown]
	v_accvgpr_read_b32 v48, a62
	v_add_f64 v[58:59], v[148:149], v[186:187]
	v_add_f64 v[60:61], v[60:61], v[62:63]
	v_accvgpr_read_b32 v49, a63
	v_add_f64 v[58:59], v[58:59], v[60:61]
	v_add_f64 v[48:49], v[234:235], -v[48:49]
	v_add_f64 v[50:51], v[50:51], v[54:55]
	v_add_f64 v[54:55], v[66:67], v[214:215]
	;; [unrolled: 1-line block ×29, first 2 shown]
	v_accvgpr_read_b32 v71, a13
	v_add_f64 v[54:55], v[54:55], v[116:117]
	v_accvgpr_read_b32 v53, a1
	v_accvgpr_read_b32 v70, a12
	;; [unrolled: 1-line block ×4, first 2 shown]
	v_add_f64 v[84:85], v[54:55], v[112:113]
	v_lshlrev_b32_e32 v53, 4, v53
	ds_write_b128 v53, v[84:87]
	ds_write_b128 v53, v[48:51] offset:16
	ds_write_b128 v53, v[44:47] offset:32
	;; [unrolled: 1-line block ×12, first 2 shown]
.LBB0_17:
	s_or_b64 exec, exec, s[0:1]
	s_waitcnt lgkmcnt(0)
	s_barrier
	ds_read_b128 v[84:87], v168
	ds_read_b128 v[36:39], v168 offset:2704
	ds_read_b128 v[44:47], v168 offset:5408
	ds_read_b128 v[48:51], v168 offset:8112
	ds_read_b128 v[88:91], v168 offset:10816
	ds_read_b128 v[92:95], v168 offset:13520
	ds_read_b128 v[96:99], v168 offset:16224
	ds_read_b128 v[100:103], v168 offset:18928
	ds_read_b128 v[104:107], v168 offset:21632
	ds_read_b128 v[108:111], v168 offset:24336
	s_waitcnt lgkmcnt(8)
	v_mul_f64 v[16:17], v[14:15], v[38:39]
	v_mul_f64 v[14:15], v[14:15], v[36:37]
	v_fmac_f64_e32 v[16:17], v[12:13], v[36:37]
	v_fma_f64 v[14:15], v[12:13], v[38:39], -v[14:15]
	s_waitcnt lgkmcnt(7)
	v_mul_f64 v[12:13], v[10:11], v[46:47]
	v_mul_f64 v[10:11], v[10:11], v[44:45]
	v_fmac_f64_e32 v[12:13], v[8:9], v[44:45]
	v_fma_f64 v[8:9], v[8:9], v[46:47], -v[10:11]
	s_waitcnt lgkmcnt(6)
	v_mul_f64 v[10:11], v[6:7], v[50:51]
	v_mul_f64 v[6:7], v[6:7], v[48:49]
	v_fmac_f64_e32 v[10:11], v[4:5], v[48:49]
	v_fma_f64 v[4:5], v[4:5], v[50:51], -v[6:7]
	s_waitcnt lgkmcnt(5)
	v_mul_f64 v[6:7], v[2:3], v[90:91]
	v_mul_f64 v[2:3], v[2:3], v[88:89]
	v_fmac_f64_e32 v[6:7], v[0:1], v[88:89]
	v_fma_f64 v[0:1], v[0:1], v[90:91], -v[2:3]
	s_waitcnt lgkmcnt(4)
	v_mul_f64 v[2:3], v[34:35], v[94:95]
	v_mul_f64 v[18:19], v[34:35], v[92:93]
	v_fmac_f64_e32 v[2:3], v[32:33], v[92:93]
	v_fma_f64 v[18:19], v[32:33], v[94:95], -v[18:19]
	s_waitcnt lgkmcnt(3)
	v_mul_f64 v[32:33], v[30:31], v[98:99]
	v_mul_f64 v[30:31], v[30:31], v[96:97]
	v_fmac_f64_e32 v[32:33], v[28:29], v[96:97]
	v_fma_f64 v[28:29], v[28:29], v[98:99], -v[30:31]
	s_waitcnt lgkmcnt(2)
	v_mul_f64 v[30:31], v[26:27], v[102:103]
	v_mul_f64 v[26:27], v[26:27], v[100:101]
	v_fmac_f64_e32 v[30:31], v[24:25], v[100:101]
	v_fma_f64 v[24:25], v[24:25], v[102:103], -v[26:27]
	s_waitcnt lgkmcnt(1)
	v_mul_f64 v[26:27], v[22:23], v[106:107]
	v_mul_f64 v[22:23], v[22:23], v[104:105]
	v_fmac_f64_e32 v[26:27], v[20:21], v[104:105]
	v_fma_f64 v[20:21], v[20:21], v[106:107], -v[22:23]
	s_waitcnt lgkmcnt(0)
	v_mul_f64 v[22:23], v[42:43], v[110:111]
	v_mul_f64 v[34:35], v[42:43], v[108:109]
	v_add_f64 v[38:39], v[6:7], v[32:33]
	s_mov_b32 s18, 0x134454ff
	v_fmac_f64_e32 v[22:23], v[40:41], v[108:109]
	v_fma_f64 v[34:35], v[40:41], v[110:111], -v[34:35]
	v_fma_f64 v[38:39], -0.5, v[38:39], v[84:85]
	v_add_f64 v[40:41], v[8:9], -v[20:21]
	s_mov_b32 s19, 0xbfee6f0e
	s_mov_b32 s16, 0x4755a5e
	;; [unrolled: 1-line block ×4, first 2 shown]
	v_fma_f64 v[42:43], s[18:19], v[40:41], v[38:39]
	v_add_f64 v[44:45], v[0:1], -v[28:29]
	s_mov_b32 s17, 0xbfe2cf23
	v_add_f64 v[46:47], v[12:13], -v[6:7]
	v_add_f64 v[48:49], v[26:27], -v[32:33]
	s_mov_b32 s14, 0x372fe950
	v_fmac_f64_e32 v[38:39], s[10:11], v[40:41]
	s_mov_b32 s1, 0x3fe2cf23
	s_mov_b32 s0, s16
	v_fmac_f64_e32 v[42:43], s[16:17], v[44:45]
	v_add_f64 v[46:47], v[46:47], v[48:49]
	s_mov_b32 s15, 0x3fd3c6ef
	v_fmac_f64_e32 v[38:39], s[0:1], v[44:45]
	v_fmac_f64_e32 v[42:43], s[14:15], v[46:47]
	;; [unrolled: 1-line block ×3, first 2 shown]
	v_add_f64 v[46:47], v[12:13], v[26:27]
	v_add_f64 v[36:37], v[84:85], v[12:13]
	v_fmac_f64_e32 v[84:85], -0.5, v[46:47]
	v_fma_f64 v[46:47], s[10:11], v[44:45], v[84:85]
	v_fmac_f64_e32 v[84:85], s[18:19], v[44:45]
	v_fmac_f64_e32 v[46:47], s[16:17], v[40:41]
	;; [unrolled: 1-line block ×3, first 2 shown]
	v_add_f64 v[40:41], v[86:87], v[8:9]
	v_add_f64 v[40:41], v[40:41], v[0:1]
	v_add_f64 v[48:49], v[6:7], -v[12:13]
	v_add_f64 v[50:51], v[32:33], -v[26:27]
	v_add_f64 v[40:41], v[40:41], v[28:29]
	v_add_f64 v[36:37], v[36:37], v[6:7]
	;; [unrolled: 1-line block ×6, first 2 shown]
	v_fmac_f64_e32 v[46:47], s[14:15], v[48:49]
	v_fmac_f64_e32 v[84:85], s[14:15], v[48:49]
	v_fma_f64 v[48:49], -0.5, v[40:41], v[86:87]
	v_add_f64 v[12:13], v[12:13], -v[26:27]
	v_add_f64 v[36:37], v[36:37], v[26:27]
	v_fma_f64 v[50:51], s[10:11], v[12:13], v[48:49]
	v_add_f64 v[6:7], v[6:7], -v[32:33]
	v_add_f64 v[26:27], v[8:9], -v[0:1]
	;; [unrolled: 1-line block ×3, first 2 shown]
	v_fmac_f64_e32 v[48:49], s[18:19], v[12:13]
	v_fmac_f64_e32 v[50:51], s[0:1], v[6:7]
	v_add_f64 v[26:27], v[26:27], v[32:33]
	v_fmac_f64_e32 v[48:49], s[16:17], v[6:7]
	v_fmac_f64_e32 v[50:51], s[14:15], v[26:27]
	;; [unrolled: 1-line block ×3, first 2 shown]
	v_add_f64 v[26:27], v[8:9], v[20:21]
	v_fmac_f64_e32 v[86:87], -0.5, v[26:27]
	v_fma_f64 v[54:55], s[18:19], v[6:7], v[86:87]
	v_add_f64 v[0:1], v[0:1], -v[8:9]
	v_add_f64 v[8:9], v[28:29], -v[20:21]
	v_fmac_f64_e32 v[86:87], s[10:11], v[6:7]
	v_fmac_f64_e32 v[54:55], s[0:1], v[12:13]
	v_add_f64 v[0:1], v[0:1], v[8:9]
	v_fmac_f64_e32 v[86:87], s[16:17], v[12:13]
	v_fmac_f64_e32 v[54:55], s[14:15], v[0:1]
	v_fmac_f64_e32 v[86:87], s[14:15], v[0:1]
	v_add_f64 v[0:1], v[16:17], v[10:11]
	v_add_f64 v[0:1], v[0:1], v[2:3]
	;; [unrolled: 1-line block ×5, first 2 shown]
	v_fma_f64 v[28:29], -0.5, v[0:1], v[16:17]
	v_add_f64 v[0:1], v[4:5], -v[34:35]
	v_fma_f64 v[6:7], s[18:19], v[0:1], v[28:29]
	v_add_f64 v[8:9], v[18:19], -v[24:25]
	v_add_f64 v[12:13], v[10:11], -v[2:3]
	;; [unrolled: 1-line block ×3, first 2 shown]
	v_fmac_f64_e32 v[28:29], s[10:11], v[0:1]
	v_fmac_f64_e32 v[6:7], s[16:17], v[8:9]
	v_add_f64 v[12:13], v[12:13], v[20:21]
	v_fmac_f64_e32 v[28:29], s[0:1], v[8:9]
	v_fmac_f64_e32 v[6:7], s[14:15], v[12:13]
	;; [unrolled: 1-line block ×3, first 2 shown]
	v_add_f64 v[12:13], v[10:11], v[22:23]
	v_fmac_f64_e32 v[16:17], -0.5, v[12:13]
	v_fma_f64 v[32:33], s[10:11], v[8:9], v[16:17]
	v_fmac_f64_e32 v[16:17], s[18:19], v[8:9]
	v_fmac_f64_e32 v[32:33], s[16:17], v[0:1]
	;; [unrolled: 1-line block ×3, first 2 shown]
	v_add_f64 v[0:1], v[14:15], v[4:5]
	v_add_f64 v[0:1], v[0:1], v[18:19]
	;; [unrolled: 1-line block ×3, first 2 shown]
	v_add_f64 v[12:13], v[2:3], -v[10:11]
	v_add_f64 v[20:21], v[30:31], -v[22:23]
	v_add_f64 v[56:57], v[0:1], v[34:35]
	v_add_f64 v[0:1], v[18:19], v[24:25]
	;; [unrolled: 1-line block ×3, first 2 shown]
	v_fma_f64 v[40:41], -0.5, v[0:1], v[14:15]
	v_add_f64 v[0:1], v[10:11], -v[22:23]
	v_fmac_f64_e32 v[32:33], s[14:15], v[12:13]
	v_fmac_f64_e32 v[16:17], s[14:15], v[12:13]
	v_fma_f64 v[10:11], s[10:11], v[0:1], v[40:41]
	v_add_f64 v[2:3], v[2:3], -v[30:31]
	v_add_f64 v[8:9], v[4:5], -v[18:19]
	;; [unrolled: 1-line block ×3, first 2 shown]
	v_fmac_f64_e32 v[40:41], s[18:19], v[0:1]
	v_fmac_f64_e32 v[10:11], s[0:1], v[2:3]
	v_add_f64 v[8:9], v[8:9], v[12:13]
	v_fmac_f64_e32 v[40:41], s[16:17], v[2:3]
	v_fmac_f64_e32 v[10:11], s[14:15], v[8:9]
	;; [unrolled: 1-line block ×3, first 2 shown]
	v_add_f64 v[8:9], v[4:5], v[34:35]
	v_fmac_f64_e32 v[14:15], -0.5, v[8:9]
	v_fma_f64 v[22:23], s[18:19], v[2:3], v[14:15]
	v_add_f64 v[4:5], v[18:19], -v[4:5]
	v_add_f64 v[8:9], v[24:25], -v[34:35]
	v_fmac_f64_e32 v[14:15], s[10:11], v[2:3]
	v_fmac_f64_e32 v[22:23], s[0:1], v[0:1]
	v_add_f64 v[4:5], v[4:5], v[8:9]
	v_fmac_f64_e32 v[14:15], s[16:17], v[0:1]
	v_fmac_f64_e32 v[22:23], s[14:15], v[4:5]
	;; [unrolled: 1-line block ×3, first 2 shown]
	s_mov_b32 s20, 0x9b97f4a8
	v_mul_f64 v[30:31], v[22:23], s[18:19]
	v_mul_f64 v[34:35], v[14:15], s[18:19]
	s_mov_b32 s19, 0xbfd3c6ef
	s_mov_b32 s18, s14
	v_mul_f64 v[18:19], v[10:11], s[16:17]
	s_mov_b32 s21, 0x3fe9e377
	v_mul_f64 v[58:59], v[40:41], s[16:17]
	s_mov_b32 s17, 0xbfe9e377
	s_mov_b32 s16, s20
	v_mul_f64 v[64:65], v[14:15], s[18:19]
	v_fmac_f64_e32 v[34:35], s[18:19], v[16:17]
	v_mul_f64 v[60:61], v[10:11], s[20:21]
	v_mul_f64 v[62:63], v[22:23], s[14:15]
	v_fmac_f64_e32 v[64:65], s[10:11], v[16:17]
	v_mul_f64 v[16:17], v[40:41], s[16:17]
	v_fmac_f64_e32 v[18:19], s[20:21], v[6:7]
	v_fmac_f64_e32 v[30:31], s[14:15], v[32:33]
	;; [unrolled: 1-line block ×6, first 2 shown]
	v_add_f64 v[0:1], v[36:37], v[26:27]
	v_add_f64 v[4:5], v[42:43], v[18:19]
	;; [unrolled: 1-line block ×10, first 2 shown]
	v_add_f64 v[24:25], v[36:37], -v[26:27]
	v_add_f64 v[32:33], v[42:43], -v[18:19]
	;; [unrolled: 1-line block ×10, first 2 shown]
	s_barrier
	ds_write_b128 v52, v[0:3]
	ds_write_b128 v52, v[4:7] offset:208
	ds_write_b128 v52, v[8:11] offset:416
	ds_write_b128 v52, v[12:15] offset:624
	ds_write_b128 v52, v[20:23] offset:832
	ds_write_b128 v52, v[24:27] offset:1040
	ds_write_b128 v52, v[32:35] offset:1248
	ds_write_b128 v52, v[88:91] offset:1456
	ds_write_b128 v52, v[40:43] offset:1664
	ds_write_b128 v52, v[28:31] offset:1872
	s_waitcnt lgkmcnt(0)
	s_barrier
	s_and_saveexec_b64 s[0:1], s[2:3]
	s_cbranch_execz .LBB0_19
; %bb.18:
	ds_read_b128 v[0:3], v168
	ds_read_b128 v[4:7], v168 offset:2080
	ds_read_b128 v[8:11], v168 offset:4160
	;; [unrolled: 1-line block ×12, first 2 shown]
.LBB0_19:
	s_or_b64 exec, exec, s[0:1]
	s_and_saveexec_b64 s[0:1], s[2:3]
	s_cbranch_execz .LBB0_21
; %bb.20:
	v_accvgpr_read_b32 v47, a45
	v_accvgpr_read_b32 v46, a44
	;; [unrolled: 1-line block ×7, first 2 shown]
	s_waitcnt lgkmcnt(6)
	v_mul_f64 v[18:19], v[46:47], v[32:33]
	v_accvgpr_read_b32 v37, a39
	s_waitcnt lgkmcnt(5)
	v_mul_f64 v[86:87], v[38:39], v[90:91]
	v_fma_f64 v[76:77], v[44:45], v[34:35], -v[18:19]
	v_mul_f64 v[18:19], v[38:39], v[88:89]
	v_fmac_f64_e32 v[86:87], v[36:37], v[88:89]
	v_fma_f64 v[72:73], v[36:37], v[90:91], -v[18:19]
	v_accvgpr_read_b32 v39, a29
	v_mul_f64 v[84:85], v[46:47], v[34:35]
	v_accvgpr_read_b32 v38, a28
	v_fmac_f64_e32 v[84:85], v[44:45], v[32:33]
	v_accvgpr_read_b32 v37, a27
	v_accvgpr_read_b32 v36, a26
	v_mul_f64 v[32:33], v[38:39], v[26:27]
	v_fmac_f64_e32 v[32:33], v[36:37], v[24:25]
	v_accvgpr_read_b32 v47, a33
	v_mul_f64 v[24:25], v[38:39], v[24:25]
	v_accvgpr_read_b32 v46, a32
	v_fma_f64 v[62:63], v[36:37], v[26:27], -v[24:25]
	v_accvgpr_read_b32 v39, a17
	v_accvgpr_read_b32 v45, a31
	;; [unrolled: 1-line block ×3, first 2 shown]
	s_waitcnt lgkmcnt(4)
	v_mul_f64 v[24:25], v[46:47], v[40:41]
	v_accvgpr_read_b32 v38, a16
	v_mul_f64 v[34:35], v[46:47], v[42:43]
	v_fma_f64 v[60:61], v[44:45], v[42:43], -v[24:25]
	v_accvgpr_read_b32 v37, a15
	v_accvgpr_read_b32 v36, a14
	v_mul_f64 v[42:43], v[38:39], v[22:23]
	v_fmac_f64_e32 v[42:43], v[36:37], v[20:21]
	v_mul_f64 v[20:21], v[38:39], v[20:21]
	v_fmac_f64_e32 v[34:35], v[44:45], v[40:41]
	s_waitcnt lgkmcnt(3)
	v_mul_f64 v[40:41], v[82:83], v[30:31]
	v_fma_f64 v[66:67], v[36:37], v[22:23], -v[20:21]
	v_mul_f64 v[20:21], v[82:83], v[28:29]
	v_fmac_f64_e32 v[40:41], v[80:81], v[28:29]
	v_fma_f64 v[50:51], v[80:81], v[30:31], -v[20:21]
	v_mul_f64 v[64:65], v[70:71], v[14:15]
	v_accvgpr_read_b32 v28, a34
	v_fmac_f64_e32 v[64:65], v[68:69], v[12:13]
	v_accvgpr_read_b32 v30, a36
	v_accvgpr_read_b32 v31, a37
	v_mul_f64 v[12:13], v[70:71], v[12:13]
	v_accvgpr_read_b32 v29, a35
	s_waitcnt lgkmcnt(2)
	v_mul_f64 v[48:49], v[30:31], v[146:147]
	v_fma_f64 v[80:81], v[68:69], v[14:15], -v[12:13]
	v_mul_f64 v[12:13], v[30:31], v[144:145]
	v_fmac_f64_e32 v[48:49], v[28:29], v[144:145]
	v_fma_f64 v[46:47], v[28:29], v[146:147], -v[12:13]
	v_accvgpr_read_b32 v31, a9
	v_accvgpr_read_b32 v30, a8
	;; [unrolled: 1-line block ×4, first 2 shown]
	v_mul_f64 v[68:69], v[30:31], v[10:11]
	v_fmac_f64_e32 v[68:69], v[28:29], v[8:9]
	v_mul_f64 v[8:9], v[30:31], v[8:9]
	v_accvgpr_read_b32 v39, a25
	v_fma_f64 v[70:71], v[28:29], v[10:11], -v[8:9]
	v_accvgpr_read_b32 v31, a5
	v_accvgpr_read_b32 v38, a24
	;; [unrolled: 1-line block ×6, first 2 shown]
	s_waitcnt lgkmcnt(1)
	v_mul_f64 v[44:45], v[38:39], v[142:143]
	v_mul_f64 v[8:9], v[38:39], v[140:141]
	v_accvgpr_read_b32 v29, a3
	v_accvgpr_read_b32 v28, a2
	v_mul_f64 v[56:57], v[30:31], v[6:7]
	v_accvgpr_read_b32 v54, a20
	v_fmac_f64_e32 v[44:45], v[36:37], v[140:141]
	v_fma_f64 v[38:39], v[36:37], v[142:143], -v[8:9]
	v_fmac_f64_e32 v[56:57], v[28:29], v[4:5]
	v_accvgpr_read_b32 v53, a19
	v_accvgpr_read_b32 v52, a18
	s_waitcnt lgkmcnt(0)
	v_mul_f64 v[36:37], v[54:55], v[138:139]
	v_mul_f64 v[4:5], v[30:31], v[4:5]
	v_fmac_f64_e32 v[36:37], v[52:53], v[136:137]
	s_mov_b32 s34, 0x4bc48dbf
	v_fma_f64 v[58:59], v[28:29], v[6:7], -v[4:5]
	v_mul_f64 v[4:5], v[54:55], v[136:137]
	v_add_f64 v[114:115], v[56:57], -v[36:37]
	s_mov_b32 s35, 0xbfcea1e5
	v_fma_f64 v[52:53], v[52:53], v[138:139], -v[4:5]
	s_mov_b32 s30, 0x93053d00
	s_mov_b32 s24, 0x24c2f84
	v_add_f64 v[102:103], v[68:69], -v[44:45]
	s_mov_b32 s29, 0x3fddbe06
	s_mov_b32 s28, 0x4267c47c
	;; [unrolled: 1-line block ×3, first 2 shown]
	v_mul_f64 v[10:11], v[114:115], s[34:35]
	v_add_f64 v[54:55], v[58:59], v[52:53]
	s_mov_b32 s31, 0xbfef11f4
	s_mov_b32 s38, 0x42a4c3d2
	v_add_f64 v[98:99], v[64:65], -v[48:49]
	s_mov_b32 s25, 0xbfe5384d
	s_mov_b32 s20, 0xd0032e0c
	v_mul_f64 v[14:15], v[102:103], s[28:29]
	v_add_f64 v[96:97], v[70:71], v[38:39]
	s_mov_b32 s23, 0x3fec55a7
	v_fma_f64 v[4:5], s[30:31], v[54:55], v[10:11]
	v_add_f64 v[126:127], v[58:59], -v[52:53]
	s_mov_b32 s18, 0x2ef20147
	v_add_f64 v[94:95], v[42:43], -v[40:41]
	s_mov_b32 s39, 0x3fea55e2
	s_mov_b32 s16, 0x1ea71119
	v_mul_f64 v[22:23], v[98:99], s[24:25]
	v_add_f64 v[90:91], v[80:81], v[46:47]
	s_mov_b32 s21, 0xbfe7f3cc
	v_fma_f64 v[8:9], s[22:23], v[96:97], v[14:15]
	v_add_f64 v[4:5], v[2:3], v[4:5]
	v_add_f64 v[124:125], v[70:71], -v[38:39]
	v_add_f64 v[112:113], v[56:57], v[36:37]
	v_mul_f64 v[134:135], v[126:127], s[34:35]
	s_mov_b32 s26, 0x66966769
	v_add_f64 v[88:89], v[32:33], -v[34:35]
	s_mov_b32 s19, 0xbfedeba7
	s_mov_b32 s14, 0xb2365da1
	v_mul_f64 v[26:27], v[94:95], s[38:39]
	v_add_f64 v[82:83], v[66:67], v[50:51]
	s_mov_b32 s17, 0x3fe22d96
	v_fma_f64 v[12:13], s[20:21], v[90:91], v[22:23]
	v_add_f64 v[4:5], v[8:9], v[4:5]
	v_add_f64 v[122:123], v[80:81], -v[46:47]
	v_add_f64 v[110:111], v[68:69], v[44:45]
	v_mul_f64 v[130:131], v[124:125], s[28:29]
	v_fma_f64 v[136:137], v[112:113], s[30:31], -v[134:135]
	v_add_f64 v[92:93], v[84:85], -v[86:87]
	s_mov_b32 s27, 0x3fefc445
	s_mov_b32 s10, 0xebaa3ed8
	v_mul_f64 v[128:129], v[88:89], s[18:19]
	v_add_f64 v[78:79], v[62:63], v[60:61]
	s_mov_b32 s15, 0xbfd6b1d8
	v_fma_f64 v[20:21], s[16:17], v[82:83], v[26:27]
	v_add_f64 v[4:5], v[12:13], v[4:5]
	v_add_f64 v[120:121], v[66:67], -v[50:51]
	v_add_f64 v[108:109], v[64:65], v[48:49]
	v_mul_f64 v[28:29], v[122:123], s[24:25]
	v_fma_f64 v[132:133], v[110:111], s[22:23], -v[130:131]
	v_add_f64 v[136:137], v[0:1], v[136:137]
	v_mul_f64 v[16:17], v[92:93], s[26:27]
	v_add_f64 v[74:75], v[76:77], v[72:73]
	s_mov_b32 s11, 0x3fbedb7d
	v_fma_f64 v[24:25], s[14:15], v[78:79], v[128:129]
	v_add_f64 v[4:5], v[20:21], v[4:5]
	v_add_f64 v[118:119], v[62:63], -v[60:61]
	v_add_f64 v[106:107], v[42:43], v[40:41]
	v_mul_f64 v[20:21], v[120:121], s[38:39]
	v_fma_f64 v[30:31], v[108:109], s[20:21], -v[28:29]
	v_add_f64 v[132:133], v[132:133], v[136:137]
	v_fma_f64 v[18:19], s[10:11], v[74:75], v[16:17]
	v_add_f64 v[4:5], v[24:25], v[4:5]
	v_add_f64 v[116:117], v[76:77], -v[72:73]
	v_add_f64 v[104:105], v[32:33], v[34:35]
	v_mul_f64 v[12:13], v[118:119], s[18:19]
	v_fma_f64 v[24:25], v[106:107], s[16:17], -v[20:21]
	v_add_f64 v[30:31], v[30:31], v[132:133]
	v_fma_f64 v[10:11], v[54:55], s[30:31], -v[10:11]
	v_add_f64 v[6:7], v[18:19], v[4:5]
	v_add_f64 v[100:101], v[84:85], v[86:87]
	v_mul_f64 v[8:9], v[116:117], s[26:27]
	v_fma_f64 v[18:19], v[104:105], s[14:15], -v[12:13]
	v_add_f64 v[24:25], v[24:25], v[30:31]
	v_fma_f64 v[14:15], v[96:97], s[22:23], -v[14:15]
	v_add_f64 v[10:11], v[2:3], v[10:11]
	v_fmac_f64_e32 v[134:135], s[30:31], v[112:113]
	v_fma_f64 v[4:5], v[100:101], s[10:11], -v[8:9]
	v_add_f64 v[18:19], v[18:19], v[24:25]
	v_add_f64 v[10:11], v[14:15], v[10:11]
	v_fmac_f64_e32 v[130:131], s[22:23], v[110:111]
	v_add_f64 v[14:15], v[0:1], v[134:135]
	v_add_f64 v[4:5], v[4:5], v[18:19]
	v_fma_f64 v[18:19], v[78:79], s[14:15], -v[128:129]
	v_fma_f64 v[22:23], v[90:91], s[20:21], -v[22:23]
	v_fmac_f64_e32 v[28:29], s[20:21], v[108:109]
	v_add_f64 v[14:15], v[130:131], v[14:15]
	v_mul_f64 v[128:129], v[114:115], s[24:25]
	v_fma_f64 v[24:25], v[82:83], s[16:17], -v[26:27]
	v_add_f64 v[10:11], v[22:23], v[10:11]
	v_add_f64 v[14:15], v[28:29], v[14:15]
	s_mov_b32 s37, 0xbfea55e2
	s_mov_b32 s36, s38
	v_mul_f64 v[28:29], v[102:103], s[26:27]
	v_fma_f64 v[130:131], s[20:21], v[54:55], v[128:129]
	v_mul_f64 v[142:143], v[126:127], s[24:25]
	v_add_f64 v[10:11], v[24:25], v[10:11]
	v_fmac_f64_e32 v[20:21], s[16:17], v[106:107]
	s_mov_b32 s45, 0x3fcea1e5
	s_mov_b32 s44, s34
	v_mul_f64 v[24:25], v[98:99], s[36:37]
	v_fma_f64 v[30:31], s[10:11], v[96:97], v[28:29]
	v_add_f64 v[130:131], v[2:3], v[130:131]
	v_mul_f64 v[138:139], v[124:125], s[26:27]
	v_fma_f64 v[144:145], v[112:113], s[20:21], -v[142:143]
	v_add_f64 v[14:15], v[20:21], v[14:15]
	v_mul_f64 v[20:21], v[94:95], s[44:45]
	v_fma_f64 v[26:27], s[16:17], v[90:91], v[24:25]
	v_add_f64 v[30:31], v[30:31], v[130:131]
	v_mul_f64 v[134:135], v[122:123], s[36:37]
	v_fma_f64 v[140:141], v[110:111], s[10:11], -v[138:139]
	v_add_f64 v[144:145], v[0:1], v[144:145]
	v_fma_f64 v[16:17], v[74:75], s[10:11], -v[16:17]
	v_add_f64 v[10:11], v[18:19], v[10:11]
	v_fmac_f64_e32 v[12:13], s[14:15], v[104:105]
	v_mul_f64 v[18:19], v[88:89], s[28:29]
	v_fma_f64 v[22:23], s[30:31], v[82:83], v[20:21]
	v_add_f64 v[26:27], v[26:27], v[30:31]
	v_mul_f64 v[130:131], v[120:121], s[44:45]
	v_fma_f64 v[136:137], v[108:109], s[16:17], -v[134:135]
	v_add_f64 v[140:141], v[140:141], v[144:145]
	v_add_f64 v[10:11], v[16:17], v[10:11]
	v_fmac_f64_e32 v[8:9], s[10:11], v[100:101]
	v_add_f64 v[12:13], v[12:13], v[14:15]
	v_mul_f64 v[16:17], v[92:93], s[18:19]
	v_fma_f64 v[14:15], s[22:23], v[78:79], v[18:19]
	v_add_f64 v[22:23], v[22:23], v[26:27]
	v_mul_f64 v[26:27], v[118:119], s[28:29]
	v_fma_f64 v[132:133], v[106:107], s[30:31], -v[130:131]
	v_add_f64 v[136:137], v[136:137], v[140:141]
	v_add_f64 v[8:9], v[8:9], v[12:13]
	v_fma_f64 v[12:13], s[14:15], v[74:75], v[16:17]
	v_add_f64 v[14:15], v[14:15], v[22:23]
	v_mul_f64 v[22:23], v[116:117], s[18:19]
	v_fma_f64 v[30:31], v[104:105], s[22:23], -v[26:27]
	v_add_f64 v[132:133], v[132:133], v[136:137]
	v_add_f64 v[14:15], v[12:13], v[14:15]
	v_fma_f64 v[12:13], v[100:101], s[14:15], -v[22:23]
	v_add_f64 v[30:31], v[30:31], v[132:133]
	v_add_f64 v[12:13], v[12:13], v[30:31]
	v_fma_f64 v[30:31], v[54:55], s[20:21], -v[128:129]
	v_fma_f64 v[28:29], v[96:97], s[10:11], -v[28:29]
	v_add_f64 v[30:31], v[2:3], v[30:31]
	v_fma_f64 v[24:25], v[90:91], s[16:17], -v[24:25]
	v_add_f64 v[28:29], v[28:29], v[30:31]
	v_fma_f64 v[20:21], v[82:83], s[30:31], -v[20:21]
	v_add_f64 v[24:25], v[24:25], v[28:29]
	v_fma_f64 v[18:19], v[78:79], s[22:23], -v[18:19]
	v_add_f64 v[20:21], v[20:21], v[24:25]
	v_fma_f64 v[16:17], v[74:75], s[14:15], -v[16:17]
	v_add_f64 v[18:19], v[18:19], v[20:21]
	v_fmac_f64_e32 v[142:143], s[20:21], v[112:113]
	v_add_f64 v[18:19], v[16:17], v[18:19]
	v_fmac_f64_e32 v[138:139], s[10:11], v[110:111]
	v_add_f64 v[16:17], v[0:1], v[142:143]
	s_mov_b32 s43, 0x3fe5384d
	s_mov_b32 s42, s24
	v_mul_f64 v[136:137], v[114:115], s[18:19]
	v_fmac_f64_e32 v[134:135], s[16:17], v[108:109]
	v_add_f64 v[16:17], v[138:139], v[16:17]
	v_mul_f64 v[132:133], v[102:103], s[42:43]
	v_fma_f64 v[138:139], s[14:15], v[54:55], v[136:137]
	v_mul_f64 v[150:151], v[126:127], s[18:19]
	v_fmac_f64_e32 v[130:131], s[30:31], v[106:107]
	v_add_f64 v[16:17], v[134:135], v[16:17]
	s_mov_b32 s41, 0xbfefc445
	s_mov_b32 s40, s26
	v_mul_f64 v[128:129], v[98:99], s[28:29]
	v_fma_f64 v[134:135], s[20:21], v[96:97], v[132:133]
	v_add_f64 v[138:139], v[2:3], v[138:139]
	v_mul_f64 v[146:147], v[124:125], s[42:43]
	v_fma_f64 v[152:153], v[112:113], s[14:15], -v[150:151]
	v_fmac_f64_e32 v[26:27], s[22:23], v[104:105]
	v_add_f64 v[16:17], v[130:131], v[16:17]
	v_mul_f64 v[28:29], v[94:95], s[40:41]
	v_fma_f64 v[130:131], s[22:23], v[90:91], v[128:129]
	v_add_f64 v[134:135], v[134:135], v[138:139]
	v_mul_f64 v[142:143], v[122:123], s[28:29]
	v_fma_f64 v[148:149], v[110:111], s[20:21], -v[146:147]
	v_add_f64 v[152:153], v[0:1], v[152:153]
	v_fmac_f64_e32 v[22:23], s[14:15], v[100:101]
	v_add_f64 v[16:17], v[26:27], v[16:17]
	v_mul_f64 v[26:27], v[88:89], s[44:45]
	v_fma_f64 v[30:31], s[10:11], v[82:83], v[28:29]
	v_add_f64 v[130:131], v[130:131], v[134:135]
	v_mul_f64 v[138:139], v[120:121], s[40:41]
	v_fma_f64 v[144:145], v[108:109], s[22:23], -v[142:143]
	v_add_f64 v[148:149], v[148:149], v[152:153]
	v_add_f64 v[16:17], v[22:23], v[16:17]
	v_mul_f64 v[24:25], v[92:93], s[38:39]
	v_fma_f64 v[22:23], s[30:31], v[78:79], v[26:27]
	v_add_f64 v[30:31], v[30:31], v[130:131]
	v_mul_f64 v[130:131], v[118:119], s[44:45]
	v_fma_f64 v[140:141], v[106:107], s[10:11], -v[138:139]
	v_add_f64 v[144:145], v[144:145], v[148:149]
	v_fma_f64 v[20:21], s[16:17], v[74:75], v[24:25]
	v_add_f64 v[22:23], v[22:23], v[30:31]
	v_mul_f64 v[30:31], v[116:117], s[38:39]
	v_fma_f64 v[134:135], v[104:105], s[30:31], -v[130:131]
	v_add_f64 v[140:141], v[140:141], v[144:145]
	v_add_f64 v[22:23], v[20:21], v[22:23]
	v_fma_f64 v[20:21], v[100:101], s[16:17], -v[30:31]
	v_add_f64 v[134:135], v[134:135], v[140:141]
	v_add_f64 v[20:21], v[20:21], v[134:135]
	v_fma_f64 v[134:135], v[54:55], s[14:15], -v[136:137]
	v_fma_f64 v[132:133], v[96:97], s[20:21], -v[132:133]
	v_add_f64 v[134:135], v[2:3], v[134:135]
	v_fma_f64 v[128:129], v[90:91], s[22:23], -v[128:129]
	v_add_f64 v[132:133], v[132:133], v[134:135]
	;; [unrolled: 2-line block ×5, first 2 shown]
	v_fmac_f64_e32 v[150:151], s[14:15], v[112:113]
	v_add_f64 v[26:27], v[24:25], v[26:27]
	v_fmac_f64_e32 v[146:147], s[20:21], v[110:111]
	v_add_f64 v[24:25], v[0:1], v[150:151]
	v_mul_f64 v[144:145], v[114:115], s[40:41]
	v_fmac_f64_e32 v[142:143], s[22:23], v[108:109]
	v_add_f64 v[24:25], v[146:147], v[24:25]
	s_mov_b32 s39, 0x3fedeba7
	s_mov_b32 s38, s18
	v_mul_f64 v[140:141], v[102:103], s[34:35]
	v_fma_f64 v[146:147], s[10:11], v[54:55], v[144:145]
	v_mul_f64 v[158:159], v[126:127], s[40:41]
	v_fmac_f64_e32 v[138:139], s[10:11], v[106:107]
	v_add_f64 v[24:25], v[142:143], v[24:25]
	v_mul_f64 v[136:137], v[98:99], s[38:39]
	v_fma_f64 v[142:143], s[30:31], v[96:97], v[140:141]
	v_add_f64 v[146:147], v[2:3], v[146:147]
	v_mul_f64 v[154:155], v[124:125], s[34:35]
	v_fma_f64 v[160:161], v[112:113], s[10:11], -v[158:159]
	v_fmac_f64_e32 v[130:131], s[30:31], v[104:105]
	v_add_f64 v[24:25], v[138:139], v[24:25]
	v_mul_f64 v[132:133], v[94:95], s[28:29]
	v_fma_f64 v[138:139], s[14:15], v[90:91], v[136:137]
	v_add_f64 v[142:143], v[142:143], v[146:147]
	v_mul_f64 v[150:151], v[122:123], s[38:39]
	v_fma_f64 v[156:157], v[110:111], s[30:31], -v[154:155]
	v_add_f64 v[160:161], v[0:1], v[160:161]
	v_fmac_f64_e32 v[30:31], s[16:17], v[100:101]
	v_add_f64 v[24:25], v[130:131], v[24:25]
	v_mul_f64 v[130:131], v[88:89], s[36:37]
	v_fma_f64 v[134:135], s[22:23], v[82:83], v[132:133]
	v_add_f64 v[138:139], v[138:139], v[142:143]
	v_mul_f64 v[146:147], v[120:121], s[28:29]
	v_fma_f64 v[152:153], v[108:109], s[14:15], -v[150:151]
	v_add_f64 v[156:157], v[156:157], v[160:161]
	v_add_f64 v[24:25], v[30:31], v[24:25]
	v_mul_f64 v[128:129], v[92:93], s[24:25]
	v_fma_f64 v[30:31], s[16:17], v[78:79], v[130:131]
	v_add_f64 v[134:135], v[134:135], v[138:139]
	v_mul_f64 v[138:139], v[118:119], s[36:37]
	v_fma_f64 v[148:149], v[106:107], s[22:23], -v[146:147]
	v_add_f64 v[152:153], v[152:153], v[156:157]
	v_fma_f64 v[28:29], s[20:21], v[74:75], v[128:129]
	v_add_f64 v[30:31], v[30:31], v[134:135]
	v_mul_f64 v[134:135], v[116:117], s[24:25]
	v_fma_f64 v[142:143], v[104:105], s[16:17], -v[138:139]
	v_add_f64 v[148:149], v[148:149], v[152:153]
	v_add_f64 v[30:31], v[28:29], v[30:31]
	v_fma_f64 v[28:29], v[100:101], s[20:21], -v[134:135]
	v_add_f64 v[142:143], v[142:143], v[148:149]
	v_add_f64 v[28:29], v[28:29], v[142:143]
	v_fma_f64 v[142:143], v[54:55], s[10:11], -v[144:145]
	v_fma_f64 v[140:141], v[96:97], s[30:31], -v[140:141]
	v_add_f64 v[142:143], v[2:3], v[142:143]
	v_fma_f64 v[136:137], v[90:91], s[14:15], -v[136:137]
	v_add_f64 v[140:141], v[140:141], v[142:143]
	;; [unrolled: 2-line block ×5, first 2 shown]
	v_fmac_f64_e32 v[158:159], s[10:11], v[112:113]
	v_add_f64 v[130:131], v[128:129], v[130:131]
	v_fmac_f64_e32 v[154:155], s[30:31], v[110:111]
	v_add_f64 v[128:129], v[0:1], v[158:159]
	v_mul_f64 v[152:153], v[114:115], s[36:37]
	v_fmac_f64_e32 v[150:151], s[14:15], v[108:109]
	v_add_f64 v[128:129], v[154:155], v[128:129]
	v_mul_f64 v[148:149], v[102:103], s[18:19]
	v_fma_f64 v[154:155], s[16:17], v[54:55], v[152:153]
	v_mul_f64 v[166:167], v[126:127], s[36:37]
	v_fmac_f64_e32 v[146:147], s[22:23], v[106:107]
	v_add_f64 v[128:129], v[150:151], v[128:129]
	v_mul_f64 v[144:145], v[98:99], s[34:35]
	v_fma_f64 v[150:151], s[14:15], v[96:97], v[148:149]
	v_add_f64 v[154:155], v[2:3], v[154:155]
	v_mul_f64 v[162:163], v[124:125], s[18:19]
	v_fma_f64 v[170:171], v[112:113], s[16:17], -v[166:167]
	v_fmac_f64_e32 v[138:139], s[16:17], v[104:105]
	v_add_f64 v[128:129], v[146:147], v[128:129]
	v_mul_f64 v[140:141], v[94:95], s[42:43]
	v_fma_f64 v[146:147], s[30:31], v[90:91], v[144:145]
	v_add_f64 v[150:151], v[150:151], v[154:155]
	v_mul_f64 v[158:159], v[122:123], s[34:35]
	v_fma_f64 v[164:165], v[110:111], s[14:15], -v[162:163]
	v_add_f64 v[170:171], v[0:1], v[170:171]
	v_fmac_f64_e32 v[134:135], s[20:21], v[100:101]
	v_add_f64 v[128:129], v[138:139], v[128:129]
	v_mul_f64 v[138:139], v[88:89], s[26:27]
	v_fma_f64 v[142:143], s[20:21], v[82:83], v[140:141]
	v_add_f64 v[146:147], v[146:147], v[150:151]
	v_mul_f64 v[154:155], v[120:121], s[42:43]
	v_fma_f64 v[160:161], v[108:109], s[30:31], -v[158:159]
	v_add_f64 v[164:165], v[164:165], v[170:171]
	v_add_f64 v[128:129], v[134:135], v[128:129]
	v_mul_f64 v[136:137], v[92:93], s[28:29]
	v_fma_f64 v[134:135], s[10:11], v[78:79], v[138:139]
	v_add_f64 v[142:143], v[142:143], v[146:147]
	v_mul_f64 v[146:147], v[118:119], s[26:27]
	v_fma_f64 v[156:157], v[106:107], s[20:21], -v[154:155]
	v_add_f64 v[160:161], v[160:161], v[164:165]
	v_fma_f64 v[132:133], s[22:23], v[74:75], v[136:137]
	v_add_f64 v[134:135], v[134:135], v[142:143]
	v_mul_f64 v[142:143], v[116:117], s[28:29]
	v_fma_f64 v[150:151], v[104:105], s[10:11], -v[146:147]
	v_add_f64 v[156:157], v[156:157], v[160:161]
	v_add_f64 v[134:135], v[132:133], v[134:135]
	v_fma_f64 v[132:133], v[100:101], s[22:23], -v[142:143]
	v_add_f64 v[150:151], v[150:151], v[156:157]
	v_add_f64 v[132:133], v[132:133], v[150:151]
	v_fma_f64 v[150:151], v[54:55], s[16:17], -v[152:153]
	v_fma_f64 v[148:149], v[96:97], s[14:15], -v[148:149]
	v_add_f64 v[150:151], v[2:3], v[150:151]
	v_fma_f64 v[144:145], v[90:91], s[30:31], -v[144:145]
	v_add_f64 v[148:149], v[148:149], v[150:151]
	v_fma_f64 v[140:141], v[82:83], s[20:21], -v[140:141]
	v_add_f64 v[144:145], v[144:145], v[148:149]
	v_fma_f64 v[138:139], v[78:79], s[10:11], -v[138:139]
	v_add_f64 v[140:141], v[140:141], v[144:145]
	v_fma_f64 v[136:137], v[74:75], s[22:23], -v[136:137]
	v_add_f64 v[138:139], v[138:139], v[140:141]
	v_fmac_f64_e32 v[166:167], s[16:17], v[112:113]
	v_add_f64 v[138:139], v[136:137], v[138:139]
	v_fmac_f64_e32 v[162:163], s[14:15], v[110:111]
	v_add_f64 v[136:137], v[0:1], v[166:167]
	;; [unrolled: 2-line block ×4, first 2 shown]
	s_mov_b32 s29, 0xbfddbe06
	v_fmac_f64_e32 v[146:147], s[10:11], v[104:105]
	v_add_f64 v[136:137], v[154:155], v[136:137]
	v_mul_f64 v[114:115], v[114:115], s[28:29]
	v_fmac_f64_e32 v[142:143], s[22:23], v[100:101]
	v_add_f64 v[136:137], v[146:147], v[136:137]
	v_mul_f64 v[88:89], v[88:89], s[24:25]
	v_mul_f64 v[98:99], v[98:99], s[40:41]
	;; [unrolled: 1-line block ×3, first 2 shown]
	v_fma_f64 v[150:151], s[22:23], v[54:55], v[114:115]
	v_fma_f64 v[54:55], v[54:55], s[22:23], -v[114:115]
	v_add_f64 v[136:137], v[142:143], v[136:137]
	v_fma_f64 v[142:143], s[20:21], v[78:79], v[88:89]
	v_fma_f64 v[146:147], s[10:11], v[90:91], v[98:99]
	v_fma_f64 v[78:79], v[78:79], s[20:21], -v[88:89]
	v_fma_f64 v[88:89], v[90:91], s[10:11], -v[98:99]
	;; [unrolled: 1-line block ×3, first 2 shown]
	v_add_f64 v[54:55], v[2:3], v[54:55]
	v_mul_f64 v[144:145], v[94:95], s[18:19]
	v_add_f64 v[54:55], v[90:91], v[54:55]
	v_fma_f64 v[94:95], s[14:15], v[82:83], v[144:145]
	v_fma_f64 v[82:83], v[82:83], s[14:15], -v[144:145]
	v_add_f64 v[54:55], v[88:89], v[54:55]
	v_mul_f64 v[140:141], v[92:93], s[34:35]
	v_mul_f64 v[126:127], v[126:127], s[28:29]
	v_add_f64 v[54:55], v[82:83], v[54:55]
	v_fma_f64 v[92:93], s[30:31], v[74:75], v[140:141]
	v_fma_f64 v[152:153], v[112:113], s[22:23], -v[126:127]
	v_fma_f64 v[74:75], v[74:75], s[30:31], -v[140:141]
	v_add_f64 v[54:55], v[78:79], v[54:55]
	v_fmac_f64_e32 v[126:127], s[22:23], v[112:113]
	v_add_f64 v[150:151], v[2:3], v[150:151]
	v_add_f64 v[152:153], v[0:1], v[152:153]
	;; [unrolled: 1-line block ×16, first 2 shown]
	v_fma_f64 v[148:149], s[16:17], v[96:97], v[102:103]
	v_mul_f64 v[124:125], v[124:125], s[36:37]
	v_add_f64 v[2:3], v[2:3], v[72:73]
	v_add_f64 v[0:1], v[0:1], v[86:87]
	;; [unrolled: 1-line block ×3, first 2 shown]
	v_mul_f64 v[122:123], v[122:123], s[40:41]
	v_fma_f64 v[150:151], v[110:111], s[16:17], -v[124:125]
	v_fmac_f64_e32 v[124:125], s[16:17], v[110:111]
	v_add_f64 v[2:3], v[2:3], v[60:61]
	v_add_f64 v[0:1], v[0:1], v[34:35]
	v_add_f64 v[146:147], v[146:147], v[148:149]
	v_mul_f64 v[120:121], v[120:121], s[18:19]
	v_fma_f64 v[148:149], v[108:109], s[10:11], -v[122:123]
	v_add_f64 v[150:151], v[150:151], v[152:153]
	v_fmac_f64_e32 v[122:123], s[10:11], v[108:109]
	v_add_f64 v[54:55], v[124:125], v[54:55]
	v_add_f64 v[2:3], v[2:3], v[50:51]
	v_add_f64 v[0:1], v[0:1], v[40:41]
	v_add_f64 v[94:95], v[94:95], v[146:147]
	v_mul_f64 v[118:119], v[118:119], s[24:25]
	v_fma_f64 v[146:147], v[106:107], s[14:15], -v[120:121]
	v_add_f64 v[148:149], v[148:149], v[150:151]
	v_fmac_f64_e32 v[120:121], s[14:15], v[106:107]
	v_add_f64 v[54:55], v[122:123], v[54:55]
	;; [unrolled: 8-line block ×3, first 2 shown]
	v_add_f64 v[2:3], v[2:3], v[38:39]
	v_add_f64 v[0:1], v[0:1], v[44:45]
	;; [unrolled: 1-line block ×3, first 2 shown]
	v_fma_f64 v[92:93], v[100:101], s[30:31], -v[116:117]
	v_add_f64 v[142:143], v[142:143], v[146:147]
	v_fmac_f64_e32 v[116:117], s[30:31], v[100:101]
	v_add_f64 v[54:55], v[118:119], v[54:55]
	v_add_f64 v[2:3], v[2:3], v[52:53]
	v_add_f64 v[0:1], v[0:1], v[36:37]
	v_add_f64 v[92:93], v[92:93], v[142:143]
	v_add_f64 v[88:89], v[116:117], v[54:55]
	ds_write_b128 v168, v[0:3]
	ds_write_b128 v168, v[88:91] offset:2080
	ds_write_b128 v168, v[136:139] offset:4160
	;; [unrolled: 1-line block ×12, first 2 shown]
.LBB0_21:
	s_or_b64 exec, exec, s[0:1]
	s_waitcnt lgkmcnt(0)
	s_barrier
	s_and_b64 exec, exec, s[2:3]
	s_cbranch_execz .LBB0_23
; %bb.22:
	v_mov_b32_e32 v57, v169
	v_mov_b32_e32 v169, 0
	global_load_dwordx4 v[0:3], v168, s[12:13]
	global_load_dwordx4 v[4:7], v168, s[12:13] offset:2080
	s_movk_i32 s0, 0x1000
	v_lshl_add_u64 v[36:37], s[12:13], 0, v[168:169]
	v_add_co_u32_e32 v16, vcc, s0, v36
	s_movk_i32 s2, 0x2000
	s_nop 0
	v_addc_co_u32_e32 v17, vcc, 0, v37, vcc
	global_load_dwordx4 v[8:11], v[16:17], off offset:64
	global_load_dwordx4 v[12:15], v[16:17], off offset:2144
	v_add_co_u32_e32 v44, vcc, s2, v36
	v_mad_u64_u32 v[42:43], s[2:3], s4, v57, 0
	s_nop 0
	v_addc_co_u32_e32 v45, vcc, 0, v37, vcc
	global_load_dwordx4 v[16:19], v[44:45], off offset:128
	ds_read_b128 v[32:35], v168
	ds_read_b128 v[28:31], v168 offset:2080
	ds_read_b128 v[24:27], v168 offset:4160
	;; [unrolled: 1-line block ×3, first 2 shown]
	global_load_dwordx4 v[44:47], v[44:45], off offset:2208
	v_accvgpr_read_b32 v54, a0
	s_movk_i32 s3, 0x3000
	v_mad_u64_u32 v[40:41], s[0:1], s6, v54, 0
	v_add_co_u32_e32 v68, vcc, s3, v36
	v_mov_b32_e32 v52, v41
	s_nop 0
	v_addc_co_u32_e32 v69, vcc, 0, v37, vcc
	v_mad_u64_u32 v[58:59], s[6:7], s7, v54, v[52:53]
	global_load_dwordx4 v[52:55], v[68:69], off offset:192
	v_mov_b32_e32 v38, s8
	s_movk_i32 s8, 0x4000
	v_mov_b32_e32 v56, v43
	v_mad_u64_u32 v[56:57], s[6:7], s5, v57, v[56:57]
	v_add_co_u32_e32 v70, vcc, s8, v36
	ds_read_b128 v[48:51], v168 offset:24960
	s_nop 0
	v_addc_co_u32_e32 v71, vcc, 0, v37, vcc
	v_mov_b32_e32 v41, v58
	v_mov_b32_e32 v43, v56
	global_load_dwordx4 v[56:59], v[68:69], off offset:2272
	global_load_dwordx4 v[60:63], v[70:71], off offset:256
	;; [unrolled: 1-line block ×3, first 2 shown]
	v_mov_b32_e32 v39, s9
	s_mov_b32 s0, 0x622898b1
	v_lshl_add_u64 v[38:39], v[40:41], 4, v[38:39]
	s_mov_b32 s1, 0x3f4363ac
	v_mov_b32_e32 v72, 0x820
	v_lshl_add_u64 v[38:39], v[42:43], 4, v[38:39]
	s_mul_i32 s2, s5, 0x820
	v_mad_u64_u32 v[40:41], s[6:7], s4, v72, v[38:39]
	s_movk_i32 s9, 0x5000
	v_add_u32_e32 v41, s2, v41
	v_mad_u64_u32 v[42:43], s[6:7], s4, v72, v[40:41]
	v_add_u32_e32 v43, s2, v43
	s_movk_i32 s3, 0x6000
	s_waitcnt vmcnt(9) lgkmcnt(4)
	v_mul_f64 v[68:69], v[34:35], v[2:3]
	v_mul_f64 v[2:3], v[32:33], v[2:3]
	s_waitcnt vmcnt(8) lgkmcnt(3)
	v_mul_f64 v[70:71], v[30:31], v[6:7]
	v_mul_f64 v[6:7], v[28:29], v[6:7]
	v_fmac_f64_e32 v[68:69], v[32:33], v[0:1]
	v_fma_f64 v[2:3], v[0:1], v[34:35], -v[2:3]
	v_fmac_f64_e32 v[70:71], v[28:29], v[4:5]
	v_fma_f64 v[6:7], v[4:5], v[30:31], -v[6:7]
	v_mul_f64 v[0:1], v[68:69], s[0:1]
	v_mul_f64 v[2:3], v[2:3], s[0:1]
	;; [unrolled: 1-line block ×4, first 2 shown]
	global_store_dwordx4 v[38:39], v[0:3], off
	global_store_dwordx4 v[40:41], v[4:7], off
	s_waitcnt vmcnt(9) lgkmcnt(2)
	v_mul_f64 v[0:1], v[26:27], v[10:11]
	v_mul_f64 v[2:3], v[24:25], v[10:11]
	v_fmac_f64_e32 v[0:1], v[24:25], v[8:9]
	v_fma_f64 v[2:3], v[8:9], v[26:27], -v[2:3]
	v_add_co_u32_e32 v24, vcc, s9, v36
	v_mul_f64 v[0:1], v[0:1], s[0:1]
	v_mul_f64 v[2:3], v[2:3], s[0:1]
	v_addc_co_u32_e32 v25, vcc, 0, v37, vcc
	global_store_dwordx4 v[42:43], v[0:3], off
	global_load_dwordx4 v[0:3], v[24:25], off offset:320
	s_waitcnt vmcnt(10) lgkmcnt(1)
	v_mul_f64 v[4:5], v[22:23], v[14:15]
	v_mul_f64 v[6:7], v[20:21], v[14:15]
	v_fmac_f64_e32 v[4:5], v[20:21], v[12:13]
	v_fma_f64 v[6:7], v[12:13], v[22:23], -v[6:7]
	global_load_dwordx4 v[12:15], v[24:25], off offset:2400
	ds_read_b128 v[8:11], v168 offset:8320
	v_mad_u64_u32 v[26:27], s[6:7], s4, v72, v[42:43]
	v_mul_f64 v[4:5], v[4:5], s[0:1]
	v_mul_f64 v[6:7], v[6:7], s[0:1]
	v_add_u32_e32 v27, s2, v27
	global_store_dwordx4 v[26:27], v[4:7], off
	ds_read_b128 v[4:7], v168 offset:10400
	s_waitcnt vmcnt(11) lgkmcnt(1)
	v_mul_f64 v[20:21], v[10:11], v[18:19]
	v_fmac_f64_e32 v[20:21], v[8:9], v[16:17]
	v_mul_f64 v[8:9], v[8:9], v[18:19]
	v_fma_f64 v[8:9], v[16:17], v[10:11], -v[8:9]
	v_mul_f64 v[22:23], v[8:9], s[0:1]
	s_waitcnt vmcnt(10) lgkmcnt(0)
	v_mul_f64 v[8:9], v[6:7], v[46:47]
	v_fmac_f64_e32 v[8:9], v[4:5], v[44:45]
	v_mul_f64 v[4:5], v[4:5], v[46:47]
	v_mad_u64_u32 v[16:17], s[6:7], s4, v72, v[26:27]
	v_fma_f64 v[4:5], v[44:45], v[6:7], -v[4:5]
	v_mul_f64 v[20:21], v[20:21], s[0:1]
	v_add_u32_e32 v17, s2, v17
	v_mul_f64 v[10:11], v[4:5], s[0:1]
	ds_read_b128 v[4:7], v168 offset:12480
	global_store_dwordx4 v[16:17], v[20:23], off
	v_mul_f64 v[8:9], v[8:9], s[0:1]
	s_nop 0
	v_mad_u64_u32 v[20:21], s[6:7], s4, v72, v[16:17]
	v_add_u32_e32 v21, s2, v21
	global_store_dwordx4 v[20:21], v[8:11], off
	ds_read_b128 v[8:11], v168 offset:14560
	s_waitcnt vmcnt(11) lgkmcnt(1)
	v_mul_f64 v[16:17], v[6:7], v[54:55]
	v_fmac_f64_e32 v[16:17], v[4:5], v[52:53]
	v_mul_f64 v[4:5], v[4:5], v[54:55]
	v_fma_f64 v[4:5], v[52:53], v[6:7], -v[4:5]
	v_mul_f64 v[18:19], v[4:5], s[0:1]
	v_mad_u64_u32 v[20:21], s[6:7], s4, v72, v[20:21]
	s_waitcnt vmcnt(10) lgkmcnt(0)
	v_mul_f64 v[4:5], v[10:11], v[58:59]
	v_mul_f64 v[6:7], v[8:9], v[58:59]
	;; [unrolled: 1-line block ×3, first 2 shown]
	v_add_u32_e32 v21, s2, v21
	v_fmac_f64_e32 v[4:5], v[8:9], v[56:57]
	v_fma_f64 v[6:7], v[56:57], v[10:11], -v[6:7]
	ds_read_b128 v[8:11], v168 offset:16640
	global_store_dwordx4 v[20:21], v[16:19], off
	v_mad_u64_u32 v[20:21], s[6:7], s4, v72, v[20:21]
	v_mul_f64 v[4:5], v[4:5], s[0:1]
	v_mul_f64 v[6:7], v[6:7], s[0:1]
	v_add_u32_e32 v21, s2, v21
	global_store_dwordx4 v[20:21], v[4:7], off
	ds_read_b128 v[4:7], v168 offset:18720
	s_waitcnt vmcnt(11) lgkmcnt(1)
	v_mul_f64 v[16:17], v[10:11], v[62:63]
	v_fmac_f64_e32 v[16:17], v[8:9], v[60:61]
	v_mul_f64 v[8:9], v[8:9], v[62:63]
	v_fma_f64 v[8:9], v[60:61], v[10:11], -v[8:9]
	v_mul_f64 v[18:19], v[8:9], s[0:1]
	s_waitcnt vmcnt(10) lgkmcnt(0)
	v_mul_f64 v[8:9], v[6:7], v[66:67]
	v_mad_u64_u32 v[20:21], s[6:7], s4, v72, v[20:21]
	v_fmac_f64_e32 v[8:9], v[4:5], v[64:65]
	v_mul_f64 v[4:5], v[4:5], v[66:67]
	v_mul_f64 v[16:17], v[16:17], s[0:1]
	v_add_u32_e32 v21, s2, v21
	v_fma_f64 v[4:5], v[64:65], v[6:7], -v[4:5]
	global_store_dwordx4 v[20:21], v[16:19], off
	v_mul_f64 v[10:11], v[4:5], s[0:1]
	ds_read_b128 v[4:7], v168 offset:20800
	v_mad_u64_u32 v[20:21], s[6:7], s4, v72, v[20:21]
	v_mul_f64 v[8:9], v[8:9], s[0:1]
	v_add_u32_e32 v21, s2, v21
	global_store_dwordx4 v[20:21], v[8:11], off
	ds_read_b128 v[8:11], v168 offset:22880
	s_waitcnt vmcnt(8) lgkmcnt(1)
	v_mul_f64 v[16:17], v[6:7], v[2:3]
	v_mul_f64 v[2:3], v[4:5], v[2:3]
	v_fmac_f64_e32 v[16:17], v[4:5], v[0:1]
	v_fma_f64 v[0:1], v[0:1], v[6:7], -v[2:3]
	v_mad_u64_u32 v[4:5], s[6:7], s4, v72, v[20:21]
	v_mul_f64 v[18:19], v[0:1], s[0:1]
	v_add_u32_e32 v5, s2, v5
	s_waitcnt vmcnt(7) lgkmcnt(0)
	v_mul_f64 v[0:1], v[10:11], v[14:15]
	v_mul_f64 v[2:3], v[8:9], v[14:15]
	v_fmac_f64_e32 v[0:1], v[8:9], v[12:13]
	v_fma_f64 v[2:3], v[12:13], v[10:11], -v[2:3]
	v_mad_u64_u32 v[8:9], s[6:7], s4, v72, v[4:5]
	v_mul_f64 v[16:17], v[16:17], s[0:1]
	v_mul_f64 v[0:1], v[0:1], s[0:1]
	;; [unrolled: 1-line block ×3, first 2 shown]
	v_add_u32_e32 v9, s2, v9
	global_store_dwordx4 v[4:5], v[16:19], off
	global_store_dwordx4 v[8:9], v[0:3], off
	s_nop 1
	v_add_co_u32_e32 v0, vcc, s3, v36
	s_nop 1
	v_addc_co_u32_e32 v1, vcc, 0, v37, vcc
	global_load_dwordx4 v[0:3], v[0:1], off offset:384
	s_waitcnt vmcnt(0)
	v_mul_f64 v[4:5], v[50:51], v[2:3]
	v_mul_f64 v[2:3], v[48:49], v[2:3]
	v_fmac_f64_e32 v[4:5], v[48:49], v[0:1]
	v_fma_f64 v[0:1], v[0:1], v[50:51], -v[2:3]
	v_mul_f64 v[4:5], v[4:5], s[0:1]
	v_mul_f64 v[6:7], v[0:1], s[0:1]
	v_mad_u64_u32 v[0:1], s[0:1], s4, v72, v[8:9]
	v_add_u32_e32 v1, s2, v1
	global_store_dwordx4 v[0:1], v[4:7], off
.LBB0_23:
	s_endpgm
	.section	.rodata,"a",@progbits
	.p2align	6, 0x0
	.amdhsa_kernel bluestein_single_fwd_len1690_dim1_dp_op_CI_CI
		.amdhsa_group_segment_fixed_size 27040
		.amdhsa_private_segment_fixed_size 0
		.amdhsa_kernarg_size 104
		.amdhsa_user_sgpr_count 2
		.amdhsa_user_sgpr_dispatch_ptr 0
		.amdhsa_user_sgpr_queue_ptr 0
		.amdhsa_user_sgpr_kernarg_segment_ptr 1
		.amdhsa_user_sgpr_dispatch_id 0
		.amdhsa_user_sgpr_kernarg_preload_length 0
		.amdhsa_user_sgpr_kernarg_preload_offset 0
		.amdhsa_user_sgpr_private_segment_size 0
		.amdhsa_uses_dynamic_stack 0
		.amdhsa_enable_private_segment 0
		.amdhsa_system_sgpr_workgroup_id_x 1
		.amdhsa_system_sgpr_workgroup_id_y 0
		.amdhsa_system_sgpr_workgroup_id_z 0
		.amdhsa_system_sgpr_workgroup_info 0
		.amdhsa_system_vgpr_workitem_id 0
		.amdhsa_next_free_vgpr 338
		.amdhsa_next_free_sgpr 50
		.amdhsa_accum_offset 256
		.amdhsa_reserve_vcc 1
		.amdhsa_float_round_mode_32 0
		.amdhsa_float_round_mode_16_64 0
		.amdhsa_float_denorm_mode_32 3
		.amdhsa_float_denorm_mode_16_64 3
		.amdhsa_dx10_clamp 1
		.amdhsa_ieee_mode 1
		.amdhsa_fp16_overflow 0
		.amdhsa_tg_split 0
		.amdhsa_exception_fp_ieee_invalid_op 0
		.amdhsa_exception_fp_denorm_src 0
		.amdhsa_exception_fp_ieee_div_zero 0
		.amdhsa_exception_fp_ieee_overflow 0
		.amdhsa_exception_fp_ieee_underflow 0
		.amdhsa_exception_fp_ieee_inexact 0
		.amdhsa_exception_int_div_zero 0
	.end_amdhsa_kernel
	.text
.Lfunc_end0:
	.size	bluestein_single_fwd_len1690_dim1_dp_op_CI_CI, .Lfunc_end0-bluestein_single_fwd_len1690_dim1_dp_op_CI_CI
                                        ; -- End function
	.section	.AMDGPU.csdata,"",@progbits
; Kernel info:
; codeLenInByte = 24064
; NumSgprs: 56
; NumVgprs: 256
; NumAgprs: 82
; TotalNumVgprs: 338
; ScratchSize: 0
; MemoryBound: 0
; FloatMode: 240
; IeeeMode: 1
; LDSByteSize: 27040 bytes/workgroup (compile time only)
; SGPRBlocks: 6
; VGPRBlocks: 42
; NumSGPRsForWavesPerEU: 56
; NumVGPRsForWavesPerEU: 338
; AccumOffset: 256
; Occupancy: 1
; WaveLimiterHint : 1
; COMPUTE_PGM_RSRC2:SCRATCH_EN: 0
; COMPUTE_PGM_RSRC2:USER_SGPR: 2
; COMPUTE_PGM_RSRC2:TRAP_HANDLER: 0
; COMPUTE_PGM_RSRC2:TGID_X_EN: 1
; COMPUTE_PGM_RSRC2:TGID_Y_EN: 0
; COMPUTE_PGM_RSRC2:TGID_Z_EN: 0
; COMPUTE_PGM_RSRC2:TIDIG_COMP_CNT: 0
; COMPUTE_PGM_RSRC3_GFX90A:ACCUM_OFFSET: 63
; COMPUTE_PGM_RSRC3_GFX90A:TG_SPLIT: 0
	.text
	.p2alignl 6, 3212836864
	.fill 256, 4, 3212836864
	.type	__hip_cuid_e4aa15d97bddbb56,@object ; @__hip_cuid_e4aa15d97bddbb56
	.section	.bss,"aw",@nobits
	.globl	__hip_cuid_e4aa15d97bddbb56
__hip_cuid_e4aa15d97bddbb56:
	.byte	0                               ; 0x0
	.size	__hip_cuid_e4aa15d97bddbb56, 1

	.ident	"AMD clang version 19.0.0git (https://github.com/RadeonOpenCompute/llvm-project roc-6.4.0 25133 c7fe45cf4b819c5991fe208aaa96edf142730f1d)"
	.section	".note.GNU-stack","",@progbits
	.addrsig
	.addrsig_sym __hip_cuid_e4aa15d97bddbb56
	.amdgpu_metadata
---
amdhsa.kernels:
  - .agpr_count:     82
    .args:
      - .actual_access:  read_only
        .address_space:  global
        .offset:         0
        .size:           8
        .value_kind:     global_buffer
      - .actual_access:  read_only
        .address_space:  global
        .offset:         8
        .size:           8
        .value_kind:     global_buffer
      - .actual_access:  read_only
        .address_space:  global
        .offset:         16
        .size:           8
        .value_kind:     global_buffer
      - .actual_access:  read_only
        .address_space:  global
        .offset:         24
        .size:           8
        .value_kind:     global_buffer
      - .actual_access:  read_only
        .address_space:  global
        .offset:         32
        .size:           8
        .value_kind:     global_buffer
      - .offset:         40
        .size:           8
        .value_kind:     by_value
      - .address_space:  global
        .offset:         48
        .size:           8
        .value_kind:     global_buffer
      - .address_space:  global
        .offset:         56
        .size:           8
        .value_kind:     global_buffer
      - .address_space:  global
        .offset:         64
        .size:           8
        .value_kind:     global_buffer
      - .address_space:  global
        .offset:         72
        .size:           8
        .value_kind:     global_buffer
      - .offset:         80
        .size:           4
        .value_kind:     by_value
      - .address_space:  global
        .offset:         88
        .size:           8
        .value_kind:     global_buffer
      - .address_space:  global
        .offset:         96
        .size:           8
        .value_kind:     global_buffer
    .group_segment_fixed_size: 27040
    .kernarg_segment_align: 8
    .kernarg_segment_size: 104
    .language:       OpenCL C
    .language_version:
      - 2
      - 0
    .max_flat_workgroup_size: 169
    .name:           bluestein_single_fwd_len1690_dim1_dp_op_CI_CI
    .private_segment_fixed_size: 0
    .sgpr_count:     56
    .sgpr_spill_count: 0
    .symbol:         bluestein_single_fwd_len1690_dim1_dp_op_CI_CI.kd
    .uniform_work_group_size: 1
    .uses_dynamic_stack: false
    .vgpr_count:     338
    .vgpr_spill_count: 0
    .wavefront_size: 64
amdhsa.target:   amdgcn-amd-amdhsa--gfx950
amdhsa.version:
  - 1
  - 2
...

	.end_amdgpu_metadata
